;; amdgpu-corpus repo=pytorch/pytorch kind=compiled arch=gfx90a opt=O3
	.text
	.amdgcn_target "amdgcn-amd-amdhsa--gfx90a"
	.amdhsa_code_object_version 6
	.section	.text._ZN7rocprim17ROCPRIM_304000_NS6detail28radix_sort_block_sort_kernelINS1_36wrapped_radix_sort_block_sort_configINS0_13kernel_configILj256ELj4ELj4294967295EEElN2at4cuda3cub6detail10OpaqueTypeILi1EEEEELb1EPKlPlPKSB_PSB_NS0_19identity_decomposerEEEvT1_T2_T3_T4_jT5_jj,"axG",@progbits,_ZN7rocprim17ROCPRIM_304000_NS6detail28radix_sort_block_sort_kernelINS1_36wrapped_radix_sort_block_sort_configINS0_13kernel_configILj256ELj4ELj4294967295EEElN2at4cuda3cub6detail10OpaqueTypeILi1EEEEELb1EPKlPlPKSB_PSB_NS0_19identity_decomposerEEEvT1_T2_T3_T4_jT5_jj,comdat
	.protected	_ZN7rocprim17ROCPRIM_304000_NS6detail28radix_sort_block_sort_kernelINS1_36wrapped_radix_sort_block_sort_configINS0_13kernel_configILj256ELj4ELj4294967295EEElN2at4cuda3cub6detail10OpaqueTypeILi1EEEEELb1EPKlPlPKSB_PSB_NS0_19identity_decomposerEEEvT1_T2_T3_T4_jT5_jj ; -- Begin function _ZN7rocprim17ROCPRIM_304000_NS6detail28radix_sort_block_sort_kernelINS1_36wrapped_radix_sort_block_sort_configINS0_13kernel_configILj256ELj4ELj4294967295EEElN2at4cuda3cub6detail10OpaqueTypeILi1EEEEELb1EPKlPlPKSB_PSB_NS0_19identity_decomposerEEEvT1_T2_T3_T4_jT5_jj
	.globl	_ZN7rocprim17ROCPRIM_304000_NS6detail28radix_sort_block_sort_kernelINS1_36wrapped_radix_sort_block_sort_configINS0_13kernel_configILj256ELj4ELj4294967295EEElN2at4cuda3cub6detail10OpaqueTypeILi1EEEEELb1EPKlPlPKSB_PSB_NS0_19identity_decomposerEEEvT1_T2_T3_T4_jT5_jj
	.p2align	8
	.type	_ZN7rocprim17ROCPRIM_304000_NS6detail28radix_sort_block_sort_kernelINS1_36wrapped_radix_sort_block_sort_configINS0_13kernel_configILj256ELj4ELj4294967295EEElN2at4cuda3cub6detail10OpaqueTypeILi1EEEEELb1EPKlPlPKSB_PSB_NS0_19identity_decomposerEEEvT1_T2_T3_T4_jT5_jj,@function
_ZN7rocprim17ROCPRIM_304000_NS6detail28radix_sort_block_sort_kernelINS1_36wrapped_radix_sort_block_sort_configINS0_13kernel_configILj256ELj4ELj4294967295EEElN2at4cuda3cub6detail10OpaqueTypeILi1EEEEELb1EPKlPlPKSB_PSB_NS0_19identity_decomposerEEEvT1_T2_T3_T4_jT5_jj: ; @_ZN7rocprim17ROCPRIM_304000_NS6detail28radix_sort_block_sort_kernelINS1_36wrapped_radix_sort_block_sort_configINS0_13kernel_configILj256ELj4ELj4294967295EEElN2at4cuda3cub6detail10OpaqueTypeILi1EEEEELb1EPKlPlPKSB_PSB_NS0_19identity_decomposerEEEvT1_T2_T3_T4_jT5_jj
; %bb.0:
	s_load_dword s2, s[4:5], 0x20
	s_load_dwordx8 s[36:43], s[4:5], 0x0
	s_lshl_b32 s28, s6, 10
	s_mov_b32 s29, 0
	v_mbcnt_lo_u32_b32 v1, -1, 0
	s_waitcnt lgkmcnt(0)
	s_lshr_b32 s0, s2, 10
	s_cmp_lg_u32 s6, s0
	s_cselect_b64 s[30:31], -1, 0
	s_lshl_b64 s[34:35], s[28:29], 3
	v_and_b32_e32 v10, 0x3ff, v0
	s_add_u32 s1, s36, s34
	v_mbcnt_hi_u32_b32 v1, -1, v1
	s_addc_u32 s3, s37, s35
	v_lshlrev_b32_e32 v14, 2, v10
	v_lshlrev_b32_e32 v2, 3, v1
	v_and_b32_e32 v16, 0x300, v14
	v_mov_b32_e32 v3, s3
	v_add_co_u32_e32 v2, vcc, s1, v2
	v_addc_co_u32_e32 v3, vcc, 0, v3, vcc
	v_lshlrev_b32_e32 v4, 3, v16
	v_add_co_u32_e32 v12, vcc, v2, v4
	s_cmp_eq_u32 s6, s0
	v_addc_co_u32_e32 v13, vcc, 0, v3, vcc
	v_add_u32_e32 v15, v1, v16
	s_cbranch_scc1 .LBB0_2
; %bb.1:
	s_add_u32 s0, s40, s28
	s_addc_u32 s1, s41, 0
	v_mov_b32_e32 v11, s1
	v_add_co_u32_e32 v17, vcc, s0, v1
	v_addc_co_u32_e32 v11, vcc, 0, v11, vcc
	v_add_co_u32_e32 v18, vcc, v17, v16
	v_addc_co_u32_e32 v19, vcc, 0, v11, vcc
	global_load_dwordx2 v[2:3], v[12:13], off
	global_load_dwordx2 v[4:5], v[12:13], off offset:512
	global_load_dwordx2 v[6:7], v[12:13], off offset:1024
	;; [unrolled: 1-line block ×3, first 2 shown]
	global_load_ubyte v43, v[18:19], off
	global_load_ubyte v44, v[18:19], off offset:64
	global_load_ubyte v45, v[18:19], off offset:128
	;; [unrolled: 1-line block ×3, first 2 shown]
	v_add_u32_e32 v28, v1, v16
	v_add_u32_e32 v11, 64, v28
	;; [unrolled: 1-line block ×4, first 2 shown]
	s_sub_i32 s29, s2, s28
	s_cbranch_execz .LBB0_3
	s_branch .LBB0_17
.LBB0_2:
                                        ; implicit-def: $vgpr2_vgpr3_vgpr4_vgpr5_vgpr6_vgpr7_vgpr8_vgpr9
                                        ; implicit-def: $vgpr43
                                        ; implicit-def: $vgpr44
                                        ; implicit-def: $vgpr45
                                        ; implicit-def: $vgpr46
                                        ; implicit-def: $vgpr28
                                        ; implicit-def: $vgpr11
                                        ; implicit-def: $vgpr26
                                        ; implicit-def: $vgpr27
	s_sub_i32 s29, s2, s28
.LBB0_3:
	s_brev_b32 s9, 1
	s_mov_b32 s8, 0
	s_mov_b32 s10, s8
	;; [unrolled: 1-line block ×7, first 2 shown]
	s_waitcnt vmcnt(4)
	v_pk_mov_b32 v[2:3], s[8:9], s[8:9] op_sel:[0,1]
	v_cmp_gt_u32_e32 vcc, s29, v15
	v_pk_mov_b32 v[4:5], s[10:11], s[10:11] op_sel:[0,1]
	v_pk_mov_b32 v[6:7], s[12:13], s[12:13] op_sel:[0,1]
	;; [unrolled: 1-line block ×3, first 2 shown]
	s_and_saveexec_b64 s[0:1], vcc
	s_cbranch_execz .LBB0_5
; %bb.4:
	global_load_dwordx2 v[2:3], v[12:13], off
	v_mov_b32_e32 v4, 0
	v_bfrev_b32_e32 v5, 1
	v_mov_b32_e32 v6, v4
	v_mov_b32_e32 v7, v5
	;; [unrolled: 1-line block ×4, first 2 shown]
.LBB0_5:
	s_or_b64 exec, exec, s[0:1]
	v_add_u32_e32 v11, 64, v15
	v_cmp_gt_u32_e64 s[0:1], s29, v11
	s_and_saveexec_b64 s[2:3], s[0:1]
	s_cbranch_execz .LBB0_7
; %bb.6:
	global_load_dwordx2 v[4:5], v[12:13], off offset:512
.LBB0_7:
	s_or_b64 exec, exec, s[2:3]
	v_add_u32_e32 v26, 0x80, v15
	v_cmp_gt_u32_e64 s[2:3], s29, v26
	s_and_saveexec_b64 s[6:7], s[2:3]
	s_cbranch_execz .LBB0_9
; %bb.8:
	global_load_dwordx2 v[6:7], v[12:13], off offset:1024
.LBB0_9:
	;; [unrolled: 8-line block ×3, first 2 shown]
	s_or_b64 exec, exec, s[8:9]
	s_add_u32 s8, s40, s28
	s_addc_u32 s9, s41, 0
	v_mov_b32_e32 v12, s9
	v_add_co_u32_e64 v13, s[8:9], s8, v1
	v_addc_co_u32_e64 v17, s[8:9], 0, v12, s[8:9]
	v_add_co_u32_e64 v12, s[8:9], v13, v16
	v_addc_co_u32_e64 v13, s[8:9], 0, v17, s[8:9]
                                        ; implicit-def: $vgpr43
	s_and_saveexec_b64 s[8:9], vcc
	s_cbranch_execnz .LBB0_54
; %bb.12:
	s_or_b64 exec, exec, s[8:9]
                                        ; implicit-def: $vgpr44
	s_and_saveexec_b64 s[8:9], s[0:1]
	s_cbranch_execnz .LBB0_55
.LBB0_13:
	s_or_b64 exec, exec, s[8:9]
                                        ; implicit-def: $vgpr45
	s_and_saveexec_b64 s[0:1], s[2:3]
	s_cbranch_execnz .LBB0_56
.LBB0_14:
	s_or_b64 exec, exec, s[0:1]
                                        ; implicit-def: $vgpr46
	s_and_saveexec_b64 s[0:1], s[6:7]
	s_cbranch_execz .LBB0_16
.LBB0_15:
	global_load_ubyte v46, v[12:13], off offset:192
.LBB0_16:
	s_or_b64 exec, exec, s[0:1]
	v_mov_b32_e32 v28, v15
.LBB0_17:
	s_load_dwordx2 s[36:37], s[4:5], 0x28
	s_load_dword s0, s[4:5], 0x3c
	s_waitcnt vmcnt(0)
	v_xor_b32_e32 v20, -1, v4
	v_bfe_u32 v4, v0, 10, 10
	v_bfe_u32 v0, v0, 20, 10
	v_xor_b32_e32 v21, 0x7fffffff, v5
	s_waitcnt lgkmcnt(0)
	s_lshr_b32 s1, s0, 16
	s_and_b32 s0, s0, 0xffff
	v_mad_u32_u24 v0, v0, s1, v4
	v_mad_u64_u32 v[4:5], s[0:1], v0, s0, v[10:11]
	v_and_b32_e32 v0, 15, v1
	v_cmp_eq_u32_e64 s[0:1], 0, v0
	v_cmp_lt_u32_e64 s[2:3], 1, v0
	v_cmp_lt_u32_e64 s[4:5], 3, v0
	;; [unrolled: 1-line block ×3, first 2 shown]
	v_and_b32_e32 v0, 16, v1
	v_cmp_eq_u32_e64 s[8:9], 0, v0
	v_and_b32_e32 v0, 0x3c0, v10
	v_min_u32_e32 v0, 0xc0, v0
	v_or_b32_e32 v0, 63, v0
	v_lshrrev_b32_e32 v30, 6, v4
	v_cmp_eq_u32_e64 s[12:13], v0, v10
	v_add_u32_e32 v0, -1, v1
	v_and_b32_e32 v4, 64, v1
	v_cmp_lt_i32_e32 vcc, v0, v4
	v_cndmask_b32_e32 v0, v0, v1, vcc
	s_mov_b32 s26, 0
	v_lshlrev_b32_e32 v31, 2, v0
	v_lshrrev_b32_e32 v0, 4, v10
	v_lshlrev_b32_e32 v29, 2, v14
	v_cmp_lt_u32_e64 s[10:11], 31, v1
	v_cmp_eq_u32_e64 s[18:19], 0, v1
	v_and_b32_e32 v32, 60, v0
	v_mul_i32_i24_e32 v0, -12, v10
	v_and_b32_e32 v1, 3, v1
	s_mov_b32 s27, s26
	s_mov_b32 s40, s26
	;; [unrolled: 1-line block ×3, first 2 shown]
	v_xor_b32_e32 v3, 0x7fffffff, v3
	v_xor_b32_e32 v2, -1, v2
	s_add_i32 s33, s37, s36
	v_xor_b32_e32 v23, 0x7fffffff, v7
	v_xor_b32_e32 v22, -1, v6
	v_xor_b32_e32 v25, 0x7fffffff, v9
	v_xor_b32_e32 v24, -1, v8
	v_cmp_gt_u32_e64 s[14:15], 4, v10
	v_cmp_lt_u32_e64 s[16:17], 63, v10
	v_cmp_eq_u32_e64 s[20:21], 0, v10
	v_cmp_eq_u32_e64 s[22:23], 0, v1
	v_cmp_lt_u32_e64 s[24:25], 1, v1
	v_add_u32_e32 v33, -4, v32
	v_lshlrev_b32_e32 v34, 3, v28
	v_lshlrev_b32_e32 v35, 3, v11
	;; [unrolled: 1-line block ×4, first 2 shown]
	v_pk_mov_b32 v[4:5], s[26:27], s[26:27] op_sel:[0,1]
	v_add_u32_e32 v42, v29, v0
	v_pk_mov_b32 v[6:7], s[40:41], s[40:41] op_sel:[0,1]
	v_mov_b32_e32 v8, 0
	s_branch .LBB0_19
.LBB0_18:                               ;   in Loop: Header=BB0_19 Depth=1
	s_barrier
	ds_write_b64 v48, v[18:19]
	ds_write_b64 v49, v[16:17]
	;; [unrolled: 1-line block ×4, first 2 shown]
	s_waitcnt lgkmcnt(0)
	s_barrier
	ds_read_b64 v[2:3], v34
	ds_read_b64 v[20:21], v35
	;; [unrolled: 1-line block ×4, first 2 shown]
	s_waitcnt lgkmcnt(0)
	s_barrier
	ds_write_b8 v0, v41
	ds_write_b8 v1, v40
	;; [unrolled: 1-line block ×4, first 2 shown]
	s_waitcnt lgkmcnt(0)
	s_barrier
	ds_read_u8 v43, v28
	ds_read_u8 v44, v11
	;; [unrolled: 1-line block ×4, first 2 shown]
	s_add_i32 s37, s37, -8
	s_waitcnt lgkmcnt(0)
	s_barrier
	s_cbranch_execz .LBB0_35
.LBB0_19:                               ; =>This Inner Loop Header: Depth=1
	s_min_u32 s26, s37, 8
	v_pk_mov_b32 v[18:19], v[2:3], v[2:3] op_sel:[0,1]
	s_lshl_b32 s26, -1, s26
	s_not_b32 s40, s26
	v_lshrrev_b64 v[0:1], s36, v[18:19]
	v_and_b32_e32 v0, s40, v0
	v_lshl_add_u32 v1, v0, 2, v30
	v_pk_mov_b32 v[16:17], v[20:21], v[20:21] op_sel:[0,1]
	v_lshl_add_u32 v20, v1, 2, 16
	v_and_b32_e32 v1, 1, v0
	v_add_co_u32_e32 v2, vcc, -1, v1
	v_addc_co_u32_e64 v3, s[26:27], 0, -1, vcc
	v_cmp_ne_u32_e32 vcc, 0, v1
	v_lshlrev_b32_e32 v9, 30, v0
	v_xor_b32_e32 v1, vcc_hi, v3
	v_not_b32_e32 v3, v9
	v_xor_b32_e32 v2, vcc_lo, v2
	v_cmp_gt_i64_e32 vcc, 0, v[8:9]
	v_ashrrev_i32_e32 v3, 31, v3
	v_and_b32_e32 v1, exec_hi, v1
	v_xor_b32_e32 v9, vcc_hi, v3
	v_and_b32_e32 v2, exec_lo, v2
	v_xor_b32_e32 v3, vcc_lo, v3
	v_and_b32_e32 v1, v1, v9
	v_lshlrev_b32_e32 v9, 29, v0
	v_and_b32_e32 v2, v2, v3
	v_not_b32_e32 v3, v9
	v_cmp_gt_i64_e32 vcc, 0, v[8:9]
	v_ashrrev_i32_e32 v3, 31, v3
	v_xor_b32_e32 v9, vcc_hi, v3
	v_xor_b32_e32 v3, vcc_lo, v3
	v_and_b32_e32 v1, v1, v9
	v_lshlrev_b32_e32 v9, 28, v0
	v_and_b32_e32 v2, v2, v3
	v_not_b32_e32 v3, v9
	v_cmp_gt_i64_e32 vcc, 0, v[8:9]
	v_ashrrev_i32_e32 v3, 31, v3
	v_xor_b32_e32 v9, vcc_hi, v3
	;; [unrolled: 8-line block ×5, first 2 shown]
	v_and_b32_e32 v1, v1, v9
	v_lshlrev_b32_e32 v9, 24, v0
	v_not_b32_e32 v0, v9
	v_xor_b32_e32 v3, vcc_lo, v3
	v_cmp_gt_i64_e32 vcc, 0, v[8:9]
	v_ashrrev_i32_e32 v0, 31, v0
	v_and_b32_e32 v2, v2, v3
	v_xor_b32_e32 v3, vcc_hi, v0
	v_xor_b32_e32 v0, vcc_lo, v0
	v_and_b32_e32 v0, v2, v0
	v_and_b32_e32 v1, v1, v3
	v_mbcnt_lo_u32_b32 v2, v0, 0
	v_mbcnt_hi_u32_b32 v21, v1, v2
	v_cmp_eq_u32_e32 vcc, 0, v21
	v_cmp_ne_u64_e64 s[26:27], 0, v[0:1]
	v_pk_mov_b32 v[12:13], v[24:25], v[24:25] op_sel:[0,1]
	v_pk_mov_b32 v[14:15], v[22:23], v[22:23] op_sel:[0,1]
	v_mov_b32_e32 v41, v43
	v_mov_b32_e32 v40, v44
	;; [unrolled: 1-line block ×4, first 2 shown]
	s_and_b64 s[44:45], s[26:27], vcc
	ds_write2_b64 v29, v[4:5], v[6:7] offset0:2 offset1:3
	s_waitcnt lgkmcnt(0)
	s_barrier
	s_waitcnt lgkmcnt(0)
	; wave barrier
	s_and_saveexec_b64 s[26:27], s[44:45]
	s_cbranch_execz .LBB0_21
; %bb.20:                               ;   in Loop: Header=BB0_19 Depth=1
	v_bcnt_u32_b32 v0, v0, 0
	v_bcnt_u32_b32 v0, v1, v0
	ds_write_b32 v20, v0
.LBB0_21:                               ;   in Loop: Header=BB0_19 Depth=1
	s_or_b64 exec, exec, s[26:27]
	v_lshrrev_b64 v[0:1], s36, v[16:17]
	v_and_b32_e32 v0, s40, v0
	v_lshlrev_b32_e32 v1, 2, v0
	v_add_lshl_u32 v1, v1, v30, 2
	; wave barrier
	v_add_u32_e32 v23, 16, v1
	ds_read_b32 v22, v1 offset:16
	v_and_b32_e32 v1, 1, v0
	v_add_co_u32_e32 v2, vcc, -1, v1
	v_addc_co_u32_e64 v3, s[26:27], 0, -1, vcc
	v_cmp_ne_u32_e32 vcc, 0, v1
	v_lshlrev_b32_e32 v9, 30, v0
	v_xor_b32_e32 v1, vcc_hi, v3
	v_not_b32_e32 v3, v9
	v_xor_b32_e32 v2, vcc_lo, v2
	v_cmp_gt_i64_e32 vcc, 0, v[8:9]
	v_ashrrev_i32_e32 v3, 31, v3
	v_and_b32_e32 v1, exec_hi, v1
	v_xor_b32_e32 v9, vcc_hi, v3
	v_and_b32_e32 v2, exec_lo, v2
	v_xor_b32_e32 v3, vcc_lo, v3
	v_and_b32_e32 v1, v1, v9
	v_lshlrev_b32_e32 v9, 29, v0
	v_and_b32_e32 v2, v2, v3
	v_not_b32_e32 v3, v9
	v_cmp_gt_i64_e32 vcc, 0, v[8:9]
	v_ashrrev_i32_e32 v3, 31, v3
	v_xor_b32_e32 v9, vcc_hi, v3
	v_xor_b32_e32 v3, vcc_lo, v3
	v_and_b32_e32 v1, v1, v9
	v_lshlrev_b32_e32 v9, 28, v0
	v_and_b32_e32 v2, v2, v3
	v_not_b32_e32 v3, v9
	v_cmp_gt_i64_e32 vcc, 0, v[8:9]
	v_ashrrev_i32_e32 v3, 31, v3
	v_xor_b32_e32 v9, vcc_hi, v3
	;; [unrolled: 8-line block ×5, first 2 shown]
	v_and_b32_e32 v1, v1, v9
	v_lshlrev_b32_e32 v9, 24, v0
	v_not_b32_e32 v0, v9
	v_xor_b32_e32 v3, vcc_lo, v3
	v_cmp_gt_i64_e32 vcc, 0, v[8:9]
	v_ashrrev_i32_e32 v0, 31, v0
	v_and_b32_e32 v2, v2, v3
	v_xor_b32_e32 v3, vcc_hi, v0
	v_xor_b32_e32 v0, vcc_lo, v0
	v_and_b32_e32 v0, v2, v0
	v_and_b32_e32 v1, v1, v3
	v_mbcnt_lo_u32_b32 v2, v0, 0
	v_mbcnt_hi_u32_b32 v24, v1, v2
	v_cmp_eq_u32_e32 vcc, 0, v24
	v_cmp_ne_u64_e64 s[26:27], 0, v[0:1]
	s_and_b64 s[44:45], s[26:27], vcc
	; wave barrier
	s_and_saveexec_b64 s[26:27], s[44:45]
	s_cbranch_execz .LBB0_23
; %bb.22:                               ;   in Loop: Header=BB0_19 Depth=1
	v_bcnt_u32_b32 v0, v0, 0
	v_bcnt_u32_b32 v0, v1, v0
	s_waitcnt lgkmcnt(0)
	v_add_u32_e32 v0, v22, v0
	ds_write_b32 v23, v0
.LBB0_23:                               ;   in Loop: Header=BB0_19 Depth=1
	s_or_b64 exec, exec, s[26:27]
	v_lshrrev_b64 v[0:1], s36, v[14:15]
	v_and_b32_e32 v0, s40, v0
	v_lshlrev_b32_e32 v1, 2, v0
	v_add_lshl_u32 v1, v1, v30, 2
	; wave barrier
	v_add_u32_e32 v43, 16, v1
	ds_read_b32 v25, v1 offset:16
	v_and_b32_e32 v1, 1, v0
	v_add_co_u32_e32 v2, vcc, -1, v1
	v_addc_co_u32_e64 v3, s[26:27], 0, -1, vcc
	v_cmp_ne_u32_e32 vcc, 0, v1
	v_lshlrev_b32_e32 v9, 30, v0
	v_xor_b32_e32 v1, vcc_hi, v3
	v_not_b32_e32 v3, v9
	v_xor_b32_e32 v2, vcc_lo, v2
	v_cmp_gt_i64_e32 vcc, 0, v[8:9]
	v_ashrrev_i32_e32 v3, 31, v3
	v_and_b32_e32 v1, exec_hi, v1
	v_xor_b32_e32 v9, vcc_hi, v3
	v_and_b32_e32 v2, exec_lo, v2
	v_xor_b32_e32 v3, vcc_lo, v3
	v_and_b32_e32 v1, v1, v9
	v_lshlrev_b32_e32 v9, 29, v0
	v_and_b32_e32 v2, v2, v3
	v_not_b32_e32 v3, v9
	v_cmp_gt_i64_e32 vcc, 0, v[8:9]
	v_ashrrev_i32_e32 v3, 31, v3
	v_xor_b32_e32 v9, vcc_hi, v3
	v_xor_b32_e32 v3, vcc_lo, v3
	v_and_b32_e32 v1, v1, v9
	v_lshlrev_b32_e32 v9, 28, v0
	v_and_b32_e32 v2, v2, v3
	v_not_b32_e32 v3, v9
	v_cmp_gt_i64_e32 vcc, 0, v[8:9]
	v_ashrrev_i32_e32 v3, 31, v3
	v_xor_b32_e32 v9, vcc_hi, v3
	;; [unrolled: 8-line block ×5, first 2 shown]
	v_and_b32_e32 v1, v1, v9
	v_lshlrev_b32_e32 v9, 24, v0
	v_not_b32_e32 v0, v9
	v_xor_b32_e32 v3, vcc_lo, v3
	v_cmp_gt_i64_e32 vcc, 0, v[8:9]
	v_ashrrev_i32_e32 v0, 31, v0
	v_and_b32_e32 v2, v2, v3
	v_xor_b32_e32 v3, vcc_hi, v0
	v_xor_b32_e32 v0, vcc_lo, v0
	v_and_b32_e32 v0, v2, v0
	v_and_b32_e32 v1, v1, v3
	v_mbcnt_lo_u32_b32 v2, v0, 0
	v_mbcnt_hi_u32_b32 v44, v1, v2
	v_cmp_eq_u32_e32 vcc, 0, v44
	v_cmp_ne_u64_e64 s[26:27], 0, v[0:1]
	s_and_b64 s[44:45], s[26:27], vcc
	; wave barrier
	s_and_saveexec_b64 s[26:27], s[44:45]
	s_cbranch_execz .LBB0_25
; %bb.24:                               ;   in Loop: Header=BB0_19 Depth=1
	v_bcnt_u32_b32 v0, v0, 0
	v_bcnt_u32_b32 v0, v1, v0
	s_waitcnt lgkmcnt(0)
	v_add_u32_e32 v0, v25, v0
	ds_write_b32 v43, v0
.LBB0_25:                               ;   in Loop: Header=BB0_19 Depth=1
	s_or_b64 exec, exec, s[26:27]
	v_lshrrev_b64 v[0:1], s36, v[12:13]
	v_and_b32_e32 v0, s40, v0
	v_lshlrev_b32_e32 v1, 2, v0
	v_add_lshl_u32 v1, v1, v30, 2
	; wave barrier
	v_add_u32_e32 v46, 16, v1
	ds_read_b32 v45, v1 offset:16
	v_and_b32_e32 v1, 1, v0
	v_add_co_u32_e32 v2, vcc, -1, v1
	v_addc_co_u32_e64 v3, s[26:27], 0, -1, vcc
	v_cmp_ne_u32_e32 vcc, 0, v1
	v_lshlrev_b32_e32 v9, 30, v0
	v_xor_b32_e32 v1, vcc_hi, v3
	v_not_b32_e32 v3, v9
	v_xor_b32_e32 v2, vcc_lo, v2
	v_cmp_gt_i64_e32 vcc, 0, v[8:9]
	v_ashrrev_i32_e32 v3, 31, v3
	v_and_b32_e32 v1, exec_hi, v1
	v_xor_b32_e32 v9, vcc_hi, v3
	v_and_b32_e32 v2, exec_lo, v2
	v_xor_b32_e32 v3, vcc_lo, v3
	v_and_b32_e32 v1, v1, v9
	v_lshlrev_b32_e32 v9, 29, v0
	v_and_b32_e32 v2, v2, v3
	v_not_b32_e32 v3, v9
	v_cmp_gt_i64_e32 vcc, 0, v[8:9]
	v_ashrrev_i32_e32 v3, 31, v3
	v_xor_b32_e32 v9, vcc_hi, v3
	v_xor_b32_e32 v3, vcc_lo, v3
	v_and_b32_e32 v1, v1, v9
	v_lshlrev_b32_e32 v9, 28, v0
	v_and_b32_e32 v2, v2, v3
	v_not_b32_e32 v3, v9
	v_cmp_gt_i64_e32 vcc, 0, v[8:9]
	v_ashrrev_i32_e32 v3, 31, v3
	v_xor_b32_e32 v9, vcc_hi, v3
	;; [unrolled: 8-line block ×5, first 2 shown]
	v_and_b32_e32 v1, v1, v9
	v_lshlrev_b32_e32 v9, 24, v0
	v_not_b32_e32 v0, v9
	v_xor_b32_e32 v3, vcc_lo, v3
	v_cmp_gt_i64_e32 vcc, 0, v[8:9]
	v_ashrrev_i32_e32 v0, 31, v0
	v_and_b32_e32 v2, v2, v3
	v_xor_b32_e32 v3, vcc_hi, v0
	v_xor_b32_e32 v0, vcc_lo, v0
	v_and_b32_e32 v0, v2, v0
	v_and_b32_e32 v1, v1, v3
	v_mbcnt_lo_u32_b32 v2, v0, 0
	v_mbcnt_hi_u32_b32 v47, v1, v2
	v_cmp_eq_u32_e32 vcc, 0, v47
	v_cmp_ne_u64_e64 s[26:27], 0, v[0:1]
	s_and_b64 s[40:41], s[26:27], vcc
	; wave barrier
	s_and_saveexec_b64 s[26:27], s[40:41]
	s_cbranch_execz .LBB0_27
; %bb.26:                               ;   in Loop: Header=BB0_19 Depth=1
	v_bcnt_u32_b32 v0, v0, 0
	v_bcnt_u32_b32 v0, v1, v0
	s_waitcnt lgkmcnt(0)
	v_add_u32_e32 v0, v45, v0
	ds_write_b32 v46, v0
.LBB0_27:                               ;   in Loop: Header=BB0_19 Depth=1
	s_or_b64 exec, exec, s[26:27]
	; wave barrier
	s_waitcnt lgkmcnt(0)
	s_barrier
	ds_read2_b64 v[0:3], v29 offset0:2 offset1:3
	s_waitcnt lgkmcnt(0)
	v_add_u32_e32 v9, v1, v0
	v_add3_u32 v3, v9, v2, v3
	s_nop 1
	v_mov_b32_dpp v9, v3 row_shr:1 row_mask:0xf bank_mask:0xf
	v_cndmask_b32_e64 v9, v9, 0, s[0:1]
	v_add_u32_e32 v3, v9, v3
	s_nop 1
	v_mov_b32_dpp v9, v3 row_shr:2 row_mask:0xf bank_mask:0xf
	v_cndmask_b32_e64 v9, 0, v9, s[2:3]
	v_add_u32_e32 v3, v3, v9
	s_nop 1
	v_mov_b32_dpp v9, v3 row_shr:4 row_mask:0xf bank_mask:0xf
	v_cndmask_b32_e64 v9, 0, v9, s[4:5]
	v_add_u32_e32 v3, v3, v9
	s_nop 1
	v_mov_b32_dpp v9, v3 row_shr:8 row_mask:0xf bank_mask:0xf
	v_cndmask_b32_e64 v9, 0, v9, s[6:7]
	v_add_u32_e32 v3, v3, v9
	s_nop 1
	v_mov_b32_dpp v9, v3 row_bcast:15 row_mask:0xf bank_mask:0xf
	v_cndmask_b32_e64 v9, v9, 0, s[8:9]
	v_add_u32_e32 v3, v3, v9
	s_nop 1
	v_mov_b32_dpp v9, v3 row_bcast:31 row_mask:0xf bank_mask:0xf
	v_cndmask_b32_e64 v9, 0, v9, s[10:11]
	v_add_u32_e32 v3, v3, v9
	s_and_saveexec_b64 s[26:27], s[12:13]
	s_cbranch_execz .LBB0_29
; %bb.28:                               ;   in Loop: Header=BB0_19 Depth=1
	ds_write_b32 v32, v3
.LBB0_29:                               ;   in Loop: Header=BB0_19 Depth=1
	s_or_b64 exec, exec, s[26:27]
	s_waitcnt lgkmcnt(0)
	s_barrier
	s_and_saveexec_b64 s[26:27], s[14:15]
	s_cbranch_execz .LBB0_31
; %bb.30:                               ;   in Loop: Header=BB0_19 Depth=1
	ds_read_b32 v9, v42
	s_waitcnt lgkmcnt(0)
	s_nop 0
	v_mov_b32_dpp v48, v9 row_shr:1 row_mask:0xf bank_mask:0xf
	v_cndmask_b32_e64 v48, v48, 0, s[22:23]
	v_add_u32_e32 v9, v48, v9
	s_nop 1
	v_mov_b32_dpp v48, v9 row_shr:2 row_mask:0xf bank_mask:0xf
	v_cndmask_b32_e64 v48, 0, v48, s[24:25]
	v_add_u32_e32 v9, v9, v48
	ds_write_b32 v42, v9
.LBB0_31:                               ;   in Loop: Header=BB0_19 Depth=1
	s_or_b64 exec, exec, s[26:27]
	v_mov_b32_e32 v9, 0
	s_waitcnt lgkmcnt(0)
	s_barrier
	s_and_saveexec_b64 s[26:27], s[16:17]
	s_cbranch_execz .LBB0_33
; %bb.32:                               ;   in Loop: Header=BB0_19 Depth=1
	ds_read_b32 v9, v33
.LBB0_33:                               ;   in Loop: Header=BB0_19 Depth=1
	s_or_b64 exec, exec, s[26:27]
	s_waitcnt lgkmcnt(0)
	v_add_u32_e32 v3, v9, v3
	ds_bpermute_b32 v3, v31, v3
	s_add_i32 s36, s36, 8
	s_cmp_ge_u32 s36, s33
	s_waitcnt lgkmcnt(0)
	v_cndmask_b32_e64 v3, v3, v9, s[18:19]
	v_cndmask_b32_e64 v48, v3, 0, s[20:21]
	v_add_u32_e32 v49, v48, v0
	v_add_u32_e32 v0, v49, v1
	;; [unrolled: 1-line block ×3, first 2 shown]
	ds_write2_b64 v29, v[48:49], v[0:1] offset0:2 offset1:3
	s_waitcnt lgkmcnt(0)
	s_barrier
	ds_read_b32 v0, v20
	ds_read_b32 v1, v23
	;; [unrolled: 1-line block ×4, first 2 shown]
	s_waitcnt lgkmcnt(0)
	v_add_u32_e32 v0, v0, v21
	v_add3_u32 v1, v24, v22, v1
	v_add3_u32 v9, v44, v25, v2
	;; [unrolled: 1-line block ×3, first 2 shown]
	v_lshlrev_b32_e32 v48, 3, v0
	v_lshlrev_b32_e32 v49, 3, v1
	;; [unrolled: 1-line block ×4, first 2 shown]
	s_cbranch_scc0 .LBB0_18
; %bb.34:
                                        ; implicit-def: $vgpr24_vgpr25
                                        ; implicit-def: $vgpr22_vgpr23
                                        ; implicit-def: $vgpr20_vgpr21
                                        ; implicit-def: $vgpr2_vgpr3
                                        ; implicit-def: $sgpr36
                                        ; implicit-def: $vgpr43
                                        ; implicit-def: $vgpr44
                                        ; implicit-def: $vgpr45
                                        ; implicit-def: $vgpr46
.LBB0_35:
	s_barrier
	ds_write_b64 v48, v[18:19]
	ds_write_b64 v49, v[16:17]
	;; [unrolled: 1-line block ×4, first 2 shown]
	v_lshlrev_b32_e32 v15, 3, v10
	s_waitcnt lgkmcnt(0)
	s_barrier
	ds_read2st64_b64 v[2:5], v15 offset1:4
	ds_read2st64_b64 v[16:19], v15 offset0:8 offset1:12
	s_waitcnt lgkmcnt(0)
	s_barrier
	ds_write_b8 v0, v41
	ds_write_b8 v1, v40
	;; [unrolled: 1-line block ×4, first 2 shown]
	s_waitcnt lgkmcnt(0)
	s_barrier
	ds_read_u8 v14, v10
	ds_read_u8 v13, v10 offset:256
	ds_read_u8 v12, v10 offset:512
	;; [unrolled: 1-line block ×3, first 2 shown]
	s_add_u32 s0, s38, s34
	s_addc_u32 s1, s39, s35
	v_xor_b32_e32 v7, 0x7fffffff, v5
	v_xor_b32_e32 v6, -1, v4
	v_mov_b32_e32 v5, s1
	v_add_co_u32_e64 v4, s[0:1], s0, v15
	v_xor_b32_e32 v9, 0x7fffffff, v3
	v_xor_b32_e32 v8, -1, v2
	v_xor_b32_e32 v3, 0x7fffffff, v17
	v_xor_b32_e32 v2, -1, v16
	;; [unrolled: 2-line block ×3, first 2 shown]
	s_andn2_b64 vcc, exec, s[30:31]
	v_addc_co_u32_e64 v5, s[0:1], 0, v5, s[0:1]
	s_cbranch_vccnz .LBB0_37
; %bb.36:
	v_add_co_u32_e32 v16, vcc, 0x1000, v4
	s_add_u32 s0, s42, s28
	v_addc_co_u32_e32 v17, vcc, 0, v5, vcc
	s_addc_u32 s1, s43, 0
	global_store_dwordx2 v[4:5], v[8:9], off
	global_store_dwordx2 v[4:5], v[6:7], off offset:2048
	global_store_dwordx2 v[16:17], v[2:3], off
	global_store_dwordx2 v[16:17], v[0:1], off offset:2048
	v_mov_b32_e32 v15, s1
	v_add_co_u32_e32 v16, vcc, s0, v10
	v_addc_co_u32_e32 v17, vcc, 0, v15, vcc
	s_mov_b64 s[6:7], -1
	s_waitcnt lgkmcnt(3)
	global_store_byte v[16:17], v14, off
	s_waitcnt lgkmcnt(2)
	global_store_byte v[16:17], v13, off offset:256
	s_waitcnt lgkmcnt(1)
	global_store_byte v[16:17], v12, off offset:512
	s_cbranch_execz .LBB0_38
	s_branch .LBB0_51
.LBB0_37:
	s_mov_b64 s[6:7], 0
.LBB0_38:
	v_cmp_gt_u32_e64 s[0:1], s29, v10
	s_and_saveexec_b64 s[2:3], s[0:1]
	s_cbranch_execz .LBB0_40
; %bb.39:
	global_store_dwordx2 v[4:5], v[8:9], off
.LBB0_40:
	s_or_b64 exec, exec, s[2:3]
	v_add_u32_e32 v8, 0x100, v10
	v_cmp_gt_u32_e64 s[2:3], s29, v8
	s_and_saveexec_b64 s[4:5], s[2:3]
	s_cbranch_execz .LBB0_42
; %bb.41:
	global_store_dwordx2 v[4:5], v[6:7], off offset:2048
.LBB0_42:
	s_or_b64 exec, exec, s[4:5]
	v_add_u32_e32 v6, 0x200, v10
	v_cmp_gt_u32_e64 s[4:5], s29, v6
	s_and_saveexec_b64 s[6:7], s[4:5]
	s_cbranch_execz .LBB0_44
; %bb.43:
	v_add_co_u32_e32 v6, vcc, 0x1000, v4
	v_addc_co_u32_e32 v7, vcc, 0, v5, vcc
	global_store_dwordx2 v[6:7], v[2:3], off
.LBB0_44:
	s_or_b64 exec, exec, s[6:7]
	v_add_u32_e32 v2, 0x300, v10
	v_cmp_gt_u32_e64 s[6:7], s29, v2
	s_and_saveexec_b64 s[8:9], s[6:7]
	s_cbranch_execz .LBB0_46
; %bb.45:
	v_add_co_u32_e32 v2, vcc, 0x1000, v4
	v_addc_co_u32_e32 v3, vcc, 0, v5, vcc
	global_store_dwordx2 v[2:3], v[0:1], off offset:2048
.LBB0_46:
	s_or_b64 exec, exec, s[8:9]
	s_add_u32 s8, s42, s28
	s_addc_u32 s9, s43, 0
	v_mov_b32_e32 v1, s9
	v_add_co_u32_e32 v0, vcc, s8, v10
	v_addc_co_u32_e32 v1, vcc, 0, v1, vcc
	s_and_saveexec_b64 s[8:9], s[0:1]
	s_cbranch_execnz .LBB0_57
; %bb.47:
	s_or_b64 exec, exec, s[8:9]
	s_and_saveexec_b64 s[0:1], s[2:3]
	s_cbranch_execnz .LBB0_58
.LBB0_48:
	s_or_b64 exec, exec, s[0:1]
	s_and_saveexec_b64 s[0:1], s[4:5]
	s_cbranch_execz .LBB0_50
.LBB0_49:
	s_waitcnt lgkmcnt(1)
	global_store_byte v[0:1], v12, off offset:512
.LBB0_50:
	s_or_b64 exec, exec, s[0:1]
.LBB0_51:
	s_and_saveexec_b64 s[0:1], s[6:7]
	s_cbranch_execnz .LBB0_53
; %bb.52:
	s_endpgm
.LBB0_53:
	s_add_u32 s0, s42, s28
	s_addc_u32 s1, s43, 0
	v_mov_b32_e32 v1, s1
	v_add_co_u32_e32 v0, vcc, s0, v10
	v_addc_co_u32_e32 v1, vcc, 0, v1, vcc
	s_waitcnt lgkmcnt(0)
	global_store_byte v[0:1], v11, off offset:768
	s_endpgm
.LBB0_54:
	global_load_ubyte v43, v[12:13], off
	s_or_b64 exec, exec, s[8:9]
                                        ; implicit-def: $vgpr44
	s_and_saveexec_b64 s[8:9], s[0:1]
	s_cbranch_execz .LBB0_13
.LBB0_55:
	global_load_ubyte v44, v[12:13], off offset:64
	s_or_b64 exec, exec, s[8:9]
                                        ; implicit-def: $vgpr45
	s_and_saveexec_b64 s[0:1], s[2:3]
	s_cbranch_execz .LBB0_14
.LBB0_56:
	global_load_ubyte v45, v[12:13], off offset:128
	s_or_b64 exec, exec, s[0:1]
                                        ; implicit-def: $vgpr46
	s_and_saveexec_b64 s[0:1], s[6:7]
	s_cbranch_execnz .LBB0_15
	s_branch .LBB0_16
.LBB0_57:
	s_waitcnt lgkmcnt(3)
	global_store_byte v[0:1], v14, off
	s_or_b64 exec, exec, s[8:9]
	s_and_saveexec_b64 s[0:1], s[2:3]
	s_cbranch_execz .LBB0_48
.LBB0_58:
	s_waitcnt lgkmcnt(2)
	global_store_byte v[0:1], v13, off offset:256
	s_or_b64 exec, exec, s[0:1]
	s_and_saveexec_b64 s[0:1], s[4:5]
	s_cbranch_execnz .LBB0_49
	s_branch .LBB0_50
	.section	.rodata,"a",@progbits
	.p2align	6, 0x0
	.amdhsa_kernel _ZN7rocprim17ROCPRIM_304000_NS6detail28radix_sort_block_sort_kernelINS1_36wrapped_radix_sort_block_sort_configINS0_13kernel_configILj256ELj4ELj4294967295EEElN2at4cuda3cub6detail10OpaqueTypeILi1EEEEELb1EPKlPlPKSB_PSB_NS0_19identity_decomposerEEEvT1_T2_T3_T4_jT5_jj
		.amdhsa_group_segment_fixed_size 8192
		.amdhsa_private_segment_fixed_size 0
		.amdhsa_kernarg_size 304
		.amdhsa_user_sgpr_count 6
		.amdhsa_user_sgpr_private_segment_buffer 1
		.amdhsa_user_sgpr_dispatch_ptr 0
		.amdhsa_user_sgpr_queue_ptr 0
		.amdhsa_user_sgpr_kernarg_segment_ptr 1
		.amdhsa_user_sgpr_dispatch_id 0
		.amdhsa_user_sgpr_flat_scratch_init 0
		.amdhsa_user_sgpr_kernarg_preload_length 0
		.amdhsa_user_sgpr_kernarg_preload_offset 0
		.amdhsa_user_sgpr_private_segment_size 0
		.amdhsa_uses_dynamic_stack 0
		.amdhsa_system_sgpr_private_segment_wavefront_offset 0
		.amdhsa_system_sgpr_workgroup_id_x 1
		.amdhsa_system_sgpr_workgroup_id_y 0
		.amdhsa_system_sgpr_workgroup_id_z 0
		.amdhsa_system_sgpr_workgroup_info 0
		.amdhsa_system_vgpr_workitem_id 2
		.amdhsa_next_free_vgpr 52
		.amdhsa_next_free_sgpr 46
		.amdhsa_accum_offset 52
		.amdhsa_reserve_vcc 1
		.amdhsa_reserve_flat_scratch 0
		.amdhsa_float_round_mode_32 0
		.amdhsa_float_round_mode_16_64 0
		.amdhsa_float_denorm_mode_32 3
		.amdhsa_float_denorm_mode_16_64 3
		.amdhsa_dx10_clamp 1
		.amdhsa_ieee_mode 1
		.amdhsa_fp16_overflow 0
		.amdhsa_tg_split 0
		.amdhsa_exception_fp_ieee_invalid_op 0
		.amdhsa_exception_fp_denorm_src 0
		.amdhsa_exception_fp_ieee_div_zero 0
		.amdhsa_exception_fp_ieee_overflow 0
		.amdhsa_exception_fp_ieee_underflow 0
		.amdhsa_exception_fp_ieee_inexact 0
		.amdhsa_exception_int_div_zero 0
	.end_amdhsa_kernel
	.section	.text._ZN7rocprim17ROCPRIM_304000_NS6detail28radix_sort_block_sort_kernelINS1_36wrapped_radix_sort_block_sort_configINS0_13kernel_configILj256ELj4ELj4294967295EEElN2at4cuda3cub6detail10OpaqueTypeILi1EEEEELb1EPKlPlPKSB_PSB_NS0_19identity_decomposerEEEvT1_T2_T3_T4_jT5_jj,"axG",@progbits,_ZN7rocprim17ROCPRIM_304000_NS6detail28radix_sort_block_sort_kernelINS1_36wrapped_radix_sort_block_sort_configINS0_13kernel_configILj256ELj4ELj4294967295EEElN2at4cuda3cub6detail10OpaqueTypeILi1EEEEELb1EPKlPlPKSB_PSB_NS0_19identity_decomposerEEEvT1_T2_T3_T4_jT5_jj,comdat
.Lfunc_end0:
	.size	_ZN7rocprim17ROCPRIM_304000_NS6detail28radix_sort_block_sort_kernelINS1_36wrapped_radix_sort_block_sort_configINS0_13kernel_configILj256ELj4ELj4294967295EEElN2at4cuda3cub6detail10OpaqueTypeILi1EEEEELb1EPKlPlPKSB_PSB_NS0_19identity_decomposerEEEvT1_T2_T3_T4_jT5_jj, .Lfunc_end0-_ZN7rocprim17ROCPRIM_304000_NS6detail28radix_sort_block_sort_kernelINS1_36wrapped_radix_sort_block_sort_configINS0_13kernel_configILj256ELj4ELj4294967295EEElN2at4cuda3cub6detail10OpaqueTypeILi1EEEEELb1EPKlPlPKSB_PSB_NS0_19identity_decomposerEEEvT1_T2_T3_T4_jT5_jj
                                        ; -- End function
	.section	.AMDGPU.csdata,"",@progbits
; Kernel info:
; codeLenInByte = 3876
; NumSgprs: 50
; NumVgprs: 52
; NumAgprs: 0
; TotalNumVgprs: 52
; ScratchSize: 0
; MemoryBound: 1
; FloatMode: 240
; IeeeMode: 1
; LDSByteSize: 8192 bytes/workgroup (compile time only)
; SGPRBlocks: 6
; VGPRBlocks: 6
; NumSGPRsForWavesPerEU: 50
; NumVGPRsForWavesPerEU: 52
; AccumOffset: 52
; Occupancy: 8
; WaveLimiterHint : 1
; COMPUTE_PGM_RSRC2:SCRATCH_EN: 0
; COMPUTE_PGM_RSRC2:USER_SGPR: 6
; COMPUTE_PGM_RSRC2:TRAP_HANDLER: 0
; COMPUTE_PGM_RSRC2:TGID_X_EN: 1
; COMPUTE_PGM_RSRC2:TGID_Y_EN: 0
; COMPUTE_PGM_RSRC2:TGID_Z_EN: 0
; COMPUTE_PGM_RSRC2:TIDIG_COMP_CNT: 2
; COMPUTE_PGM_RSRC3_GFX90A:ACCUM_OFFSET: 12
; COMPUTE_PGM_RSRC3_GFX90A:TG_SPLIT: 0
	.section	.text._ZN7rocprim17ROCPRIM_304000_NS6detail39device_merge_sort_compile_time_verifierINS1_36wrapped_merge_sort_block_sort_configINS1_28merge_sort_block_sort_configILj256ELj4ELNS0_20block_sort_algorithmE0EEElN2at4cuda3cub6detail10OpaqueTypeILi1EEEEENS1_37wrapped_merge_sort_block_merge_configINS0_14default_configElSC_EEEEvv,"axG",@progbits,_ZN7rocprim17ROCPRIM_304000_NS6detail39device_merge_sort_compile_time_verifierINS1_36wrapped_merge_sort_block_sort_configINS1_28merge_sort_block_sort_configILj256ELj4ELNS0_20block_sort_algorithmE0EEElN2at4cuda3cub6detail10OpaqueTypeILi1EEEEENS1_37wrapped_merge_sort_block_merge_configINS0_14default_configElSC_EEEEvv,comdat
	.protected	_ZN7rocprim17ROCPRIM_304000_NS6detail39device_merge_sort_compile_time_verifierINS1_36wrapped_merge_sort_block_sort_configINS1_28merge_sort_block_sort_configILj256ELj4ELNS0_20block_sort_algorithmE0EEElN2at4cuda3cub6detail10OpaqueTypeILi1EEEEENS1_37wrapped_merge_sort_block_merge_configINS0_14default_configElSC_EEEEvv ; -- Begin function _ZN7rocprim17ROCPRIM_304000_NS6detail39device_merge_sort_compile_time_verifierINS1_36wrapped_merge_sort_block_sort_configINS1_28merge_sort_block_sort_configILj256ELj4ELNS0_20block_sort_algorithmE0EEElN2at4cuda3cub6detail10OpaqueTypeILi1EEEEENS1_37wrapped_merge_sort_block_merge_configINS0_14default_configElSC_EEEEvv
	.globl	_ZN7rocprim17ROCPRIM_304000_NS6detail39device_merge_sort_compile_time_verifierINS1_36wrapped_merge_sort_block_sort_configINS1_28merge_sort_block_sort_configILj256ELj4ELNS0_20block_sort_algorithmE0EEElN2at4cuda3cub6detail10OpaqueTypeILi1EEEEENS1_37wrapped_merge_sort_block_merge_configINS0_14default_configElSC_EEEEvv
	.p2align	8
	.type	_ZN7rocprim17ROCPRIM_304000_NS6detail39device_merge_sort_compile_time_verifierINS1_36wrapped_merge_sort_block_sort_configINS1_28merge_sort_block_sort_configILj256ELj4ELNS0_20block_sort_algorithmE0EEElN2at4cuda3cub6detail10OpaqueTypeILi1EEEEENS1_37wrapped_merge_sort_block_merge_configINS0_14default_configElSC_EEEEvv,@function
_ZN7rocprim17ROCPRIM_304000_NS6detail39device_merge_sort_compile_time_verifierINS1_36wrapped_merge_sort_block_sort_configINS1_28merge_sort_block_sort_configILj256ELj4ELNS0_20block_sort_algorithmE0EEElN2at4cuda3cub6detail10OpaqueTypeILi1EEEEENS1_37wrapped_merge_sort_block_merge_configINS0_14default_configElSC_EEEEvv: ; @_ZN7rocprim17ROCPRIM_304000_NS6detail39device_merge_sort_compile_time_verifierINS1_36wrapped_merge_sort_block_sort_configINS1_28merge_sort_block_sort_configILj256ELj4ELNS0_20block_sort_algorithmE0EEElN2at4cuda3cub6detail10OpaqueTypeILi1EEEEENS1_37wrapped_merge_sort_block_merge_configINS0_14default_configElSC_EEEEvv
; %bb.0:
	s_endpgm
	.section	.rodata,"a",@progbits
	.p2align	6, 0x0
	.amdhsa_kernel _ZN7rocprim17ROCPRIM_304000_NS6detail39device_merge_sort_compile_time_verifierINS1_36wrapped_merge_sort_block_sort_configINS1_28merge_sort_block_sort_configILj256ELj4ELNS0_20block_sort_algorithmE0EEElN2at4cuda3cub6detail10OpaqueTypeILi1EEEEENS1_37wrapped_merge_sort_block_merge_configINS0_14default_configElSC_EEEEvv
		.amdhsa_group_segment_fixed_size 0
		.amdhsa_private_segment_fixed_size 0
		.amdhsa_kernarg_size 0
		.amdhsa_user_sgpr_count 4
		.amdhsa_user_sgpr_private_segment_buffer 1
		.amdhsa_user_sgpr_dispatch_ptr 0
		.amdhsa_user_sgpr_queue_ptr 0
		.amdhsa_user_sgpr_kernarg_segment_ptr 0
		.amdhsa_user_sgpr_dispatch_id 0
		.amdhsa_user_sgpr_flat_scratch_init 0
		.amdhsa_user_sgpr_kernarg_preload_length 0
		.amdhsa_user_sgpr_kernarg_preload_offset 0
		.amdhsa_user_sgpr_private_segment_size 0
		.amdhsa_uses_dynamic_stack 0
		.amdhsa_system_sgpr_private_segment_wavefront_offset 0
		.amdhsa_system_sgpr_workgroup_id_x 1
		.amdhsa_system_sgpr_workgroup_id_y 0
		.amdhsa_system_sgpr_workgroup_id_z 0
		.amdhsa_system_sgpr_workgroup_info 0
		.amdhsa_system_vgpr_workitem_id 0
		.amdhsa_next_free_vgpr 1
		.amdhsa_next_free_sgpr 0
		.amdhsa_accum_offset 4
		.amdhsa_reserve_vcc 0
		.amdhsa_reserve_flat_scratch 0
		.amdhsa_float_round_mode_32 0
		.amdhsa_float_round_mode_16_64 0
		.amdhsa_float_denorm_mode_32 3
		.amdhsa_float_denorm_mode_16_64 3
		.amdhsa_dx10_clamp 1
		.amdhsa_ieee_mode 1
		.amdhsa_fp16_overflow 0
		.amdhsa_tg_split 0
		.amdhsa_exception_fp_ieee_invalid_op 0
		.amdhsa_exception_fp_denorm_src 0
		.amdhsa_exception_fp_ieee_div_zero 0
		.amdhsa_exception_fp_ieee_overflow 0
		.amdhsa_exception_fp_ieee_underflow 0
		.amdhsa_exception_fp_ieee_inexact 0
		.amdhsa_exception_int_div_zero 0
	.end_amdhsa_kernel
	.section	.text._ZN7rocprim17ROCPRIM_304000_NS6detail39device_merge_sort_compile_time_verifierINS1_36wrapped_merge_sort_block_sort_configINS1_28merge_sort_block_sort_configILj256ELj4ELNS0_20block_sort_algorithmE0EEElN2at4cuda3cub6detail10OpaqueTypeILi1EEEEENS1_37wrapped_merge_sort_block_merge_configINS0_14default_configElSC_EEEEvv,"axG",@progbits,_ZN7rocprim17ROCPRIM_304000_NS6detail39device_merge_sort_compile_time_verifierINS1_36wrapped_merge_sort_block_sort_configINS1_28merge_sort_block_sort_configILj256ELj4ELNS0_20block_sort_algorithmE0EEElN2at4cuda3cub6detail10OpaqueTypeILi1EEEEENS1_37wrapped_merge_sort_block_merge_configINS0_14default_configElSC_EEEEvv,comdat
.Lfunc_end1:
	.size	_ZN7rocprim17ROCPRIM_304000_NS6detail39device_merge_sort_compile_time_verifierINS1_36wrapped_merge_sort_block_sort_configINS1_28merge_sort_block_sort_configILj256ELj4ELNS0_20block_sort_algorithmE0EEElN2at4cuda3cub6detail10OpaqueTypeILi1EEEEENS1_37wrapped_merge_sort_block_merge_configINS0_14default_configElSC_EEEEvv, .Lfunc_end1-_ZN7rocprim17ROCPRIM_304000_NS6detail39device_merge_sort_compile_time_verifierINS1_36wrapped_merge_sort_block_sort_configINS1_28merge_sort_block_sort_configILj256ELj4ELNS0_20block_sort_algorithmE0EEElN2at4cuda3cub6detail10OpaqueTypeILi1EEEEENS1_37wrapped_merge_sort_block_merge_configINS0_14default_configElSC_EEEEvv
                                        ; -- End function
	.section	.AMDGPU.csdata,"",@progbits
; Kernel info:
; codeLenInByte = 4
; NumSgprs: 4
; NumVgprs: 0
; NumAgprs: 0
; TotalNumVgprs: 0
; ScratchSize: 0
; MemoryBound: 0
; FloatMode: 240
; IeeeMode: 1
; LDSByteSize: 0 bytes/workgroup (compile time only)
; SGPRBlocks: 0
; VGPRBlocks: 0
; NumSGPRsForWavesPerEU: 4
; NumVGPRsForWavesPerEU: 1
; AccumOffset: 4
; Occupancy: 8
; WaveLimiterHint : 0
; COMPUTE_PGM_RSRC2:SCRATCH_EN: 0
; COMPUTE_PGM_RSRC2:USER_SGPR: 4
; COMPUTE_PGM_RSRC2:TRAP_HANDLER: 0
; COMPUTE_PGM_RSRC2:TGID_X_EN: 1
; COMPUTE_PGM_RSRC2:TGID_Y_EN: 0
; COMPUTE_PGM_RSRC2:TGID_Z_EN: 0
; COMPUTE_PGM_RSRC2:TIDIG_COMP_CNT: 0
; COMPUTE_PGM_RSRC3_GFX90A:ACCUM_OFFSET: 0
; COMPUTE_PGM_RSRC3_GFX90A:TG_SPLIT: 0
	.section	.text._ZN7rocprim17ROCPRIM_304000_NS6detail45device_block_merge_mergepath_partition_kernelINS1_37wrapped_merge_sort_block_merge_configINS0_14default_configElN2at4cuda3cub6detail10OpaqueTypeILi1EEEEEPljNS1_19radix_merge_compareILb1ELb0ElNS0_19identity_decomposerEEEEEvT0_T1_jPSH_T2_SH_,"axG",@progbits,_ZN7rocprim17ROCPRIM_304000_NS6detail45device_block_merge_mergepath_partition_kernelINS1_37wrapped_merge_sort_block_merge_configINS0_14default_configElN2at4cuda3cub6detail10OpaqueTypeILi1EEEEEPljNS1_19radix_merge_compareILb1ELb0ElNS0_19identity_decomposerEEEEEvT0_T1_jPSH_T2_SH_,comdat
	.protected	_ZN7rocprim17ROCPRIM_304000_NS6detail45device_block_merge_mergepath_partition_kernelINS1_37wrapped_merge_sort_block_merge_configINS0_14default_configElN2at4cuda3cub6detail10OpaqueTypeILi1EEEEEPljNS1_19radix_merge_compareILb1ELb0ElNS0_19identity_decomposerEEEEEvT0_T1_jPSH_T2_SH_ ; -- Begin function _ZN7rocprim17ROCPRIM_304000_NS6detail45device_block_merge_mergepath_partition_kernelINS1_37wrapped_merge_sort_block_merge_configINS0_14default_configElN2at4cuda3cub6detail10OpaqueTypeILi1EEEEEPljNS1_19radix_merge_compareILb1ELb0ElNS0_19identity_decomposerEEEEEvT0_T1_jPSH_T2_SH_
	.globl	_ZN7rocprim17ROCPRIM_304000_NS6detail45device_block_merge_mergepath_partition_kernelINS1_37wrapped_merge_sort_block_merge_configINS0_14default_configElN2at4cuda3cub6detail10OpaqueTypeILi1EEEEEPljNS1_19radix_merge_compareILb1ELb0ElNS0_19identity_decomposerEEEEEvT0_T1_jPSH_T2_SH_
	.p2align	8
	.type	_ZN7rocprim17ROCPRIM_304000_NS6detail45device_block_merge_mergepath_partition_kernelINS1_37wrapped_merge_sort_block_merge_configINS0_14default_configElN2at4cuda3cub6detail10OpaqueTypeILi1EEEEEPljNS1_19radix_merge_compareILb1ELb0ElNS0_19identity_decomposerEEEEEvT0_T1_jPSH_T2_SH_,@function
_ZN7rocprim17ROCPRIM_304000_NS6detail45device_block_merge_mergepath_partition_kernelINS1_37wrapped_merge_sort_block_merge_configINS0_14default_configElN2at4cuda3cub6detail10OpaqueTypeILi1EEEEEPljNS1_19radix_merge_compareILb1ELb0ElNS0_19identity_decomposerEEEEEvT0_T1_jPSH_T2_SH_: ; @_ZN7rocprim17ROCPRIM_304000_NS6detail45device_block_merge_mergepath_partition_kernelINS1_37wrapped_merge_sort_block_merge_configINS0_14default_configElN2at4cuda3cub6detail10OpaqueTypeILi1EEEEEPljNS1_19radix_merge_compareILb1ELb0ElNS0_19identity_decomposerEEEEEvT0_T1_jPSH_T2_SH_
; %bb.0:
	s_load_dwordx2 s[0:1], s[4:5], 0x8
	v_lshl_or_b32 v0, s6, 7, v0
	s_waitcnt lgkmcnt(0)
	v_cmp_gt_u32_e32 vcc, s1, v0
	s_and_saveexec_b64 s[2:3], vcc
	s_cbranch_execz .LBB2_6
; %bb.1:
	s_load_dword s1, s[4:5], 0x1c
	s_waitcnt lgkmcnt(0)
	s_lshr_b32 s2, s1, 9
	s_and_b32 s2, s2, 0x7ffffe
	s_add_i32 s3, s2, -1
	s_sub_i32 s2, 0, s2
	v_and_b32_e32 v1, s2, v0
	v_and_b32_e32 v2, s3, v0
	v_lshlrev_b32_e32 v1, 10, v1
	v_lshlrev_b32_e32 v3, 10, v2
	v_min_u32_e32 v2, s0, v1
	v_add_u32_e32 v1, s1, v1
	v_min_u32_e32 v4, s0, v1
	v_add_u32_e32 v1, s1, v4
	v_min_u32_e32 v1, s0, v1
	v_sub_u32_e32 v5, v1, v2
	v_min_u32_e32 v6, v5, v3
	v_sub_u32_e32 v3, v4, v2
	v_sub_u32_e32 v1, v1, v4
	v_sub_u32_e64 v1, v6, v1 clamp
	v_min_u32_e32 v7, v6, v3
	v_cmp_lt_u32_e32 vcc, v1, v7
	s_and_saveexec_b64 s[0:1], vcc
	s_cbranch_execz .LBB2_5
; %bb.2:
	s_load_dwordx2 s[2:3], s[4:5], 0x0
	v_mov_b32_e32 v5, 0
	v_mov_b32_e32 v3, v5
	v_lshlrev_b64 v[8:9], 3, v[2:3]
	v_lshlrev_b64 v[10:11], 3, v[4:5]
	s_waitcnt lgkmcnt(0)
	v_mov_b32_e32 v12, s3
	v_add_co_u32_e32 v3, vcc, s2, v8
	v_addc_co_u32_e32 v8, vcc, v12, v9, vcc
	v_add_co_u32_e32 v9, vcc, s2, v10
	v_addc_co_u32_e32 v10, vcc, v12, v11, vcc
	s_mov_b64 s[2:3], 0
.LBB2_3:                                ; =>This Inner Loop Header: Depth=1
	v_add_u32_e32 v4, v7, v1
	v_lshrrev_b32_e32 v4, 1, v4
	v_lshlrev_b64 v[14:15], 3, v[4:5]
	v_mov_b32_e32 v13, v5
	v_xad_u32 v12, v4, -1, v6
	v_add_co_u32_e32 v14, vcc, v3, v14
	v_addc_co_u32_e32 v15, vcc, v8, v15, vcc
	v_lshlrev_b64 v[12:13], 3, v[12:13]
	v_add_co_u32_e32 v12, vcc, v9, v12
	v_addc_co_u32_e32 v13, vcc, v10, v13, vcc
	global_load_dwordx2 v[16:17], v[14:15], off
	global_load_dwordx2 v[18:19], v[12:13], off
	v_add_u32_e32 v11, 1, v4
	s_waitcnt vmcnt(0)
	v_cmp_gt_i64_e32 vcc, v[18:19], v[16:17]
	v_cndmask_b32_e32 v7, v7, v4, vcc
	v_cndmask_b32_e32 v1, v11, v1, vcc
	v_cmp_ge_u32_e32 vcc, v1, v7
	s_or_b64 s[2:3], vcc, s[2:3]
	s_andn2_b64 exec, exec, s[2:3]
	s_cbranch_execnz .LBB2_3
; %bb.4:
	s_or_b64 exec, exec, s[2:3]
.LBB2_5:
	s_or_b64 exec, exec, s[0:1]
	s_load_dwordx2 s[0:1], s[4:5], 0x10
	v_add_u32_e32 v2, v1, v2
	v_mov_b32_e32 v1, 0
	v_lshlrev_b64 v[0:1], 2, v[0:1]
	s_waitcnt lgkmcnt(0)
	v_mov_b32_e32 v3, s1
	v_add_co_u32_e32 v0, vcc, s0, v0
	v_addc_co_u32_e32 v1, vcc, v3, v1, vcc
	global_store_dword v[0:1], v2, off
.LBB2_6:
	s_endpgm
	.section	.rodata,"a",@progbits
	.p2align	6, 0x0
	.amdhsa_kernel _ZN7rocprim17ROCPRIM_304000_NS6detail45device_block_merge_mergepath_partition_kernelINS1_37wrapped_merge_sort_block_merge_configINS0_14default_configElN2at4cuda3cub6detail10OpaqueTypeILi1EEEEEPljNS1_19radix_merge_compareILb1ELb0ElNS0_19identity_decomposerEEEEEvT0_T1_jPSH_T2_SH_
		.amdhsa_group_segment_fixed_size 0
		.amdhsa_private_segment_fixed_size 0
		.amdhsa_kernarg_size 32
		.amdhsa_user_sgpr_count 6
		.amdhsa_user_sgpr_private_segment_buffer 1
		.amdhsa_user_sgpr_dispatch_ptr 0
		.amdhsa_user_sgpr_queue_ptr 0
		.amdhsa_user_sgpr_kernarg_segment_ptr 1
		.amdhsa_user_sgpr_dispatch_id 0
		.amdhsa_user_sgpr_flat_scratch_init 0
		.amdhsa_user_sgpr_kernarg_preload_length 0
		.amdhsa_user_sgpr_kernarg_preload_offset 0
		.amdhsa_user_sgpr_private_segment_size 0
		.amdhsa_uses_dynamic_stack 0
		.amdhsa_system_sgpr_private_segment_wavefront_offset 0
		.amdhsa_system_sgpr_workgroup_id_x 1
		.amdhsa_system_sgpr_workgroup_id_y 0
		.amdhsa_system_sgpr_workgroup_id_z 0
		.amdhsa_system_sgpr_workgroup_info 0
		.amdhsa_system_vgpr_workitem_id 0
		.amdhsa_next_free_vgpr 20
		.amdhsa_next_free_sgpr 7
		.amdhsa_accum_offset 20
		.amdhsa_reserve_vcc 1
		.amdhsa_reserve_flat_scratch 0
		.amdhsa_float_round_mode_32 0
		.amdhsa_float_round_mode_16_64 0
		.amdhsa_float_denorm_mode_32 3
		.amdhsa_float_denorm_mode_16_64 3
		.amdhsa_dx10_clamp 1
		.amdhsa_ieee_mode 1
		.amdhsa_fp16_overflow 0
		.amdhsa_tg_split 0
		.amdhsa_exception_fp_ieee_invalid_op 0
		.amdhsa_exception_fp_denorm_src 0
		.amdhsa_exception_fp_ieee_div_zero 0
		.amdhsa_exception_fp_ieee_overflow 0
		.amdhsa_exception_fp_ieee_underflow 0
		.amdhsa_exception_fp_ieee_inexact 0
		.amdhsa_exception_int_div_zero 0
	.end_amdhsa_kernel
	.section	.text._ZN7rocprim17ROCPRIM_304000_NS6detail45device_block_merge_mergepath_partition_kernelINS1_37wrapped_merge_sort_block_merge_configINS0_14default_configElN2at4cuda3cub6detail10OpaqueTypeILi1EEEEEPljNS1_19radix_merge_compareILb1ELb0ElNS0_19identity_decomposerEEEEEvT0_T1_jPSH_T2_SH_,"axG",@progbits,_ZN7rocprim17ROCPRIM_304000_NS6detail45device_block_merge_mergepath_partition_kernelINS1_37wrapped_merge_sort_block_merge_configINS0_14default_configElN2at4cuda3cub6detail10OpaqueTypeILi1EEEEEPljNS1_19radix_merge_compareILb1ELb0ElNS0_19identity_decomposerEEEEEvT0_T1_jPSH_T2_SH_,comdat
.Lfunc_end2:
	.size	_ZN7rocprim17ROCPRIM_304000_NS6detail45device_block_merge_mergepath_partition_kernelINS1_37wrapped_merge_sort_block_merge_configINS0_14default_configElN2at4cuda3cub6detail10OpaqueTypeILi1EEEEEPljNS1_19radix_merge_compareILb1ELb0ElNS0_19identity_decomposerEEEEEvT0_T1_jPSH_T2_SH_, .Lfunc_end2-_ZN7rocprim17ROCPRIM_304000_NS6detail45device_block_merge_mergepath_partition_kernelINS1_37wrapped_merge_sort_block_merge_configINS0_14default_configElN2at4cuda3cub6detail10OpaqueTypeILi1EEEEEPljNS1_19radix_merge_compareILb1ELb0ElNS0_19identity_decomposerEEEEEvT0_T1_jPSH_T2_SH_
                                        ; -- End function
	.section	.AMDGPU.csdata,"",@progbits
; Kernel info:
; codeLenInByte = 364
; NumSgprs: 11
; NumVgprs: 20
; NumAgprs: 0
; TotalNumVgprs: 20
; ScratchSize: 0
; MemoryBound: 0
; FloatMode: 240
; IeeeMode: 1
; LDSByteSize: 0 bytes/workgroup (compile time only)
; SGPRBlocks: 1
; VGPRBlocks: 2
; NumSGPRsForWavesPerEU: 11
; NumVGPRsForWavesPerEU: 20
; AccumOffset: 20
; Occupancy: 8
; WaveLimiterHint : 0
; COMPUTE_PGM_RSRC2:SCRATCH_EN: 0
; COMPUTE_PGM_RSRC2:USER_SGPR: 6
; COMPUTE_PGM_RSRC2:TRAP_HANDLER: 0
; COMPUTE_PGM_RSRC2:TGID_X_EN: 1
; COMPUTE_PGM_RSRC2:TGID_Y_EN: 0
; COMPUTE_PGM_RSRC2:TGID_Z_EN: 0
; COMPUTE_PGM_RSRC2:TIDIG_COMP_CNT: 0
; COMPUTE_PGM_RSRC3_GFX90A:ACCUM_OFFSET: 4
; COMPUTE_PGM_RSRC3_GFX90A:TG_SPLIT: 0
	.section	.text._ZN7rocprim17ROCPRIM_304000_NS6detail35device_block_merge_mergepath_kernelINS1_37wrapped_merge_sort_block_merge_configINS0_14default_configElN2at4cuda3cub6detail10OpaqueTypeILi1EEEEEPlSC_PSA_SD_jNS1_19radix_merge_compareILb1ELb0ElNS0_19identity_decomposerEEEEEvT0_T1_T2_T3_T4_SL_jT5_PKSL_NS1_7vsmem_tE,"axG",@progbits,_ZN7rocprim17ROCPRIM_304000_NS6detail35device_block_merge_mergepath_kernelINS1_37wrapped_merge_sort_block_merge_configINS0_14default_configElN2at4cuda3cub6detail10OpaqueTypeILi1EEEEEPlSC_PSA_SD_jNS1_19radix_merge_compareILb1ELb0ElNS0_19identity_decomposerEEEEEvT0_T1_T2_T3_T4_SL_jT5_PKSL_NS1_7vsmem_tE,comdat
	.protected	_ZN7rocprim17ROCPRIM_304000_NS6detail35device_block_merge_mergepath_kernelINS1_37wrapped_merge_sort_block_merge_configINS0_14default_configElN2at4cuda3cub6detail10OpaqueTypeILi1EEEEEPlSC_PSA_SD_jNS1_19radix_merge_compareILb1ELb0ElNS0_19identity_decomposerEEEEEvT0_T1_T2_T3_T4_SL_jT5_PKSL_NS1_7vsmem_tE ; -- Begin function _ZN7rocprim17ROCPRIM_304000_NS6detail35device_block_merge_mergepath_kernelINS1_37wrapped_merge_sort_block_merge_configINS0_14default_configElN2at4cuda3cub6detail10OpaqueTypeILi1EEEEEPlSC_PSA_SD_jNS1_19radix_merge_compareILb1ELb0ElNS0_19identity_decomposerEEEEEvT0_T1_T2_T3_T4_SL_jT5_PKSL_NS1_7vsmem_tE
	.globl	_ZN7rocprim17ROCPRIM_304000_NS6detail35device_block_merge_mergepath_kernelINS1_37wrapped_merge_sort_block_merge_configINS0_14default_configElN2at4cuda3cub6detail10OpaqueTypeILi1EEEEEPlSC_PSA_SD_jNS1_19radix_merge_compareILb1ELb0ElNS0_19identity_decomposerEEEEEvT0_T1_T2_T3_T4_SL_jT5_PKSL_NS1_7vsmem_tE
	.p2align	8
	.type	_ZN7rocprim17ROCPRIM_304000_NS6detail35device_block_merge_mergepath_kernelINS1_37wrapped_merge_sort_block_merge_configINS0_14default_configElN2at4cuda3cub6detail10OpaqueTypeILi1EEEEEPlSC_PSA_SD_jNS1_19radix_merge_compareILb1ELb0ElNS0_19identity_decomposerEEEEEvT0_T1_T2_T3_T4_SL_jT5_PKSL_NS1_7vsmem_tE,@function
_ZN7rocprim17ROCPRIM_304000_NS6detail35device_block_merge_mergepath_kernelINS1_37wrapped_merge_sort_block_merge_configINS0_14default_configElN2at4cuda3cub6detail10OpaqueTypeILi1EEEEEPlSC_PSA_SD_jNS1_19radix_merge_compareILb1ELb0ElNS0_19identity_decomposerEEEEEvT0_T1_T2_T3_T4_SL_jT5_PKSL_NS1_7vsmem_tE: ; @_ZN7rocprim17ROCPRIM_304000_NS6detail35device_block_merge_mergepath_kernelINS1_37wrapped_merge_sort_block_merge_configINS0_14default_configElN2at4cuda3cub6detail10OpaqueTypeILi1EEEEEPlSC_PSA_SD_jNS1_19radix_merge_compareILb1ELb0ElNS0_19identity_decomposerEEEEEvT0_T1_T2_T3_T4_SL_jT5_PKSL_NS1_7vsmem_tE
; %bb.0:
	s_load_dwordx2 s[26:27], s[4:5], 0x40
	s_load_dwordx4 s[16:19], s[4:5], 0x20
	s_add_u32 s2, s4, 64
	s_addc_u32 s3, s5, 0
	s_waitcnt lgkmcnt(0)
	s_mul_i32 s0, s27, s8
	s_add_i32 s0, s0, s7
	s_mul_i32 s0, s0, s26
	s_add_i32 s0, s0, s6
	s_cmp_ge_u32 s0, s18
	s_cbranch_scc1 .LBB3_69
; %bb.1:
	s_load_dwordx8 s[8:15], s[4:5], 0x0
	s_load_dwordx2 s[18:19], s[4:5], 0x30
	s_lshr_b32 s29, s16, 10
	s_cmp_lg_u32 s0, s29
	s_mov_b32 s1, 0
	s_cselect_b64 s[20:21], -1, 0
	s_lshl_b64 s[4:5], s[0:1], 2
	s_waitcnt lgkmcnt(0)
	s_add_u32 s4, s18, s4
	s_addc_u32 s5, s19, s5
	s_load_dwordx2 s[22:23], s[4:5], 0x0
	s_lshr_b32 s4, s17, 9
	s_and_b32 s4, s4, 0x7ffffe
	s_sub_i32 s4, 0, s4
	s_and_b32 s5, s0, s4
	s_lshl_b32 s7, s5, 10
	s_lshl_b32 s18, s0, 10
	;; [unrolled: 1-line block ×3, first 2 shown]
	s_sub_i32 s19, s18, s7
	s_add_i32 s5, s5, s17
	s_add_i32 s19, s5, s19
	s_waitcnt lgkmcnt(0)
	s_sub_i32 s24, s19, s22
	s_sub_i32 s19, s19, s23
	;; [unrolled: 1-line block ×3, first 2 shown]
	s_min_u32 s24, s16, s24
	s_addk_i32 s19, 0x400
	s_or_b32 s4, s0, s4
	s_min_u32 s7, s16, s5
	s_add_i32 s5, s5, s17
	s_cmp_eq_u32 s4, -1
	s_cselect_b32 s4, s5, s19
	s_cselect_b32 s5, s7, s23
	s_min_u32 s4, s4, s16
	s_mov_b32 s23, s1
	s_sub_i32 s19, s5, s22
	s_sub_i32 s27, s4, s24
	s_lshl_b64 s[4:5], s[22:23], 3
	s_add_u32 s7, s8, s4
	s_mov_b32 s25, s1
	s_addc_u32 s28, s9, s5
	s_lshl_b64 s[4:5], s[24:25], 3
	s_add_u32 s4, s8, s4
	s_addc_u32 s5, s9, s5
	s_cmp_lt_u32 s6, s26
	v_mov_b32_e32 v9, 0
	s_cselect_b32 s1, 12, 18
	global_load_dword v1, v9, s[2:3] offset:14
	s_add_u32 s2, s2, s1
	s_addc_u32 s3, s3, 0
	global_load_ushort v2, v9, s[2:3]
	v_cmp_gt_u32_e32 vcc, s19, v0
	s_cmp_eq_u32 s0, s29
	s_waitcnt vmcnt(1)
	v_lshrrev_b32_e32 v3, 16, v1
	v_and_b32_e32 v1, 0xffff, v1
	v_mul_lo_u32 v1, v1, v3
	s_waitcnt vmcnt(0)
	v_mul_lo_u32 v14, v1, v2
	v_add_u32_e32 v12, v14, v0
	v_lshlrev_b32_e32 v1, 3, v0
	v_add_u32_e32 v10, v12, v14
	s_cbranch_scc1 .LBB3_3
; %bb.2:
	v_mov_b32_e32 v2, s28
	v_add_co_u32_e64 v4, s[0:1], s7, v1
	v_subrev_u32_e32 v8, s19, v0
	v_addc_co_u32_e64 v5, s[0:1], 0, v2, s[0:1]
	v_lshlrev_b64 v[2:3], 3, v[8:9]
	v_mov_b32_e32 v6, s5
	v_add_co_u32_e64 v2, s[0:1], s4, v2
	v_addc_co_u32_e64 v3, s[0:1], v6, v3, s[0:1]
	v_mov_b32_e32 v13, v9
	v_cndmask_b32_e32 v3, v3, v5, vcc
	v_cndmask_b32_e32 v2, v2, v4, vcc
	v_lshlrev_b64 v[4:5], 3, v[12:13]
	v_mov_b32_e32 v6, s28
	v_add_co_u32_e32 v7, vcc, s7, v4
	v_subrev_u32_e32 v8, s19, v12
	v_addc_co_u32_e32 v6, vcc, v6, v5, vcc
	v_lshlrev_b64 v[4:5], 3, v[8:9]
	v_mov_b32_e32 v8, s5
	v_add_co_u32_e32 v4, vcc, s4, v4
	v_addc_co_u32_e32 v5, vcc, v8, v5, vcc
	v_cmp_gt_u32_e32 vcc, s19, v12
	v_mov_b32_e32 v11, v9
	v_cndmask_b32_e32 v5, v5, v6, vcc
	v_cndmask_b32_e32 v4, v4, v7, vcc
	v_lshlrev_b64 v[6:7], 3, v[10:11]
	v_mov_b32_e32 v8, s28
	v_add_co_u32_e32 v11, vcc, s7, v6
	v_addc_co_u32_e32 v13, vcc, v8, v7, vcc
	v_subrev_u32_e32 v8, s19, v10
	v_lshlrev_b64 v[6:7], 3, v[8:9]
	v_mov_b32_e32 v8, s5
	v_add_co_u32_e32 v6, vcc, s4, v6
	v_addc_co_u32_e32 v7, vcc, v8, v7, vcc
	v_add_u32_e32 v8, v10, v14
	v_cmp_gt_u32_e32 vcc, s19, v10
	v_lshlrev_b64 v[16:17], 3, v[8:9]
	v_cndmask_b32_e32 v7, v7, v13, vcc
	v_cndmask_b32_e32 v6, v6, v11, vcc
	v_mov_b32_e32 v11, s28
	v_add_co_u32_e32 v13, vcc, s7, v16
	v_addc_co_u32_e32 v11, vcc, v11, v17, vcc
	v_cmp_gt_u32_e32 vcc, s19, v8
	v_subrev_u32_e32 v8, s19, v8
	v_lshlrev_b64 v[8:9], 3, v[8:9]
	v_mov_b32_e32 v15, s5
	v_add_co_u32_e64 v8, s[0:1], s4, v8
	v_addc_co_u32_e64 v9, s[0:1], v15, v9, s[0:1]
	v_cndmask_b32_e32 v9, v9, v11, vcc
	v_cndmask_b32_e32 v8, v8, v13, vcc
	global_load_dwordx2 v[2:3], v[2:3], off
	s_add_i32 s17, s27, s19
	global_load_dwordx2 v[4:5], v[4:5], off
	s_nop 0
	global_load_dwordx2 v[6:7], v[6:7], off
	s_nop 0
	global_load_dwordx2 v[8:9], v[8:9], off
	s_cbranch_execz .LBB3_4
	s_branch .LBB3_11
.LBB3_3:
                                        ; implicit-def: $vgpr2_vgpr3_vgpr4_vgpr5_vgpr6_vgpr7_vgpr8_vgpr9
                                        ; implicit-def: $sgpr17
.LBB3_4:
	s_add_i32 s17, s27, s19
	v_cmp_gt_u32_e32 vcc, s17, v0
                                        ; implicit-def: $vgpr2_vgpr3_vgpr4_vgpr5_vgpr6_vgpr7_vgpr8_vgpr9
	s_and_saveexec_b64 s[0:1], vcc
	s_cbranch_execnz .LBB3_70
; %bb.5:
	s_or_b64 exec, exec, s[0:1]
	v_cmp_gt_u32_e32 vcc, s17, v12
	s_and_saveexec_b64 s[2:3], vcc
	s_cbranch_execnz .LBB3_71
.LBB3_6:
	s_or_b64 exec, exec, s[2:3]
	v_cmp_gt_u32_e32 vcc, s17, v10
	s_and_saveexec_b64 s[0:1], vcc
	s_cbranch_execz .LBB3_8
.LBB3_7:
	v_mov_b32_e32 v11, 0
	s_waitcnt vmcnt(1)
	v_lshlrev_b64 v[6:7], 3, v[10:11]
	v_mov_b32_e32 v12, s28
	v_add_co_u32_e32 v13, vcc, s7, v6
	v_addc_co_u32_e32 v12, vcc, v12, v7, vcc
	v_subrev_u32_e32 v6, s19, v10
	v_mov_b32_e32 v7, v11
	v_lshlrev_b64 v[6:7], 3, v[6:7]
	v_mov_b32_e32 v11, s5
	v_add_co_u32_e32 v6, vcc, s4, v6
	v_addc_co_u32_e32 v7, vcc, v11, v7, vcc
	v_cmp_gt_u32_e32 vcc, s19, v10
	v_cndmask_b32_e32 v7, v7, v12, vcc
	v_cndmask_b32_e32 v6, v6, v13, vcc
	global_load_dwordx2 v[6:7], v[6:7], off
.LBB3_8:
	s_or_b64 exec, exec, s[0:1]
	v_add_u32_e32 v10, v10, v14
	v_cmp_gt_u32_e32 vcc, s17, v10
	s_and_saveexec_b64 s[2:3], vcc
	s_cbranch_execz .LBB3_10
; %bb.9:
	v_mov_b32_e32 v11, 0
	s_waitcnt vmcnt(0)
	v_lshlrev_b64 v[8:9], 3, v[10:11]
	v_mov_b32_e32 v12, s28
	v_add_co_u32_e32 v13, vcc, s7, v8
	v_addc_co_u32_e32 v12, vcc, v12, v9, vcc
	v_cmp_gt_u32_e32 vcc, s19, v10
	v_subrev_u32_e32 v10, s19, v10
	v_lshlrev_b64 v[8:9], 3, v[10:11]
	v_mov_b32_e32 v10, s5
	v_add_co_u32_e64 v8, s[0:1], s4, v8
	v_addc_co_u32_e64 v9, s[0:1], v10, v9, s[0:1]
	v_cndmask_b32_e32 v9, v9, v12, vcc
	v_cndmask_b32_e32 v8, v8, v13, vcc
	global_load_dwordx2 v[8:9], v[8:9], off
.LBB3_10:
	s_or_b64 exec, exec, s[2:3]
.LBB3_11:
	v_lshlrev_b32_e32 v14, 2, v0
	v_min_u32_e32 v11, s17, v14
	v_sub_u32_e64 v10, v11, s27 clamp
	v_min_u32_e32 v12, s19, v11
	v_cmp_lt_u32_e32 vcc, v10, v12
	s_waitcnt vmcnt(0)
	ds_write2st64_b64 v1, v[2:3], v[4:5] offset1:4
	ds_write2st64_b64 v1, v[6:7], v[8:9] offset0:8 offset1:12
	s_waitcnt lgkmcnt(0)
	s_barrier
	s_and_saveexec_b64 s[0:1], vcc
	s_cbranch_execz .LBB3_15
; %bb.12:
	v_lshlrev_b32_e32 v13, 3, v11
	v_lshl_add_u32 v13, s19, 3, v13
	s_mov_b64 s[2:3], 0
.LBB3_13:                               ; =>This Inner Loop Header: Depth=1
	v_add_u32_e32 v15, v12, v10
	v_lshrrev_b32_e32 v15, 1, v15
	v_not_b32_e32 v16, v15
	v_lshlrev_b32_e32 v17, 3, v15
	v_lshl_add_u32 v18, v16, 3, v13
	ds_read_b64 v[16:17], v17
	ds_read_b64 v[18:19], v18
	v_add_u32_e32 v20, 1, v15
	s_waitcnt lgkmcnt(0)
	v_cmp_gt_i64_e32 vcc, v[18:19], v[16:17]
	v_cndmask_b32_e32 v12, v12, v15, vcc
	v_cndmask_b32_e32 v10, v20, v10, vcc
	v_cmp_ge_u32_e32 vcc, v10, v12
	s_or_b64 s[2:3], vcc, s[2:3]
	s_andn2_b64 exec, exec, s[2:3]
	s_cbranch_execnz .LBB3_13
; %bb.14:
	s_or_b64 exec, exec, s[2:3]
.LBB3_15:
	s_or_b64 exec, exec, s[0:1]
	v_sub_u32_e32 v11, v11, v10
	v_add_u32_e32 v11, s19, v11
	v_cmp_ge_u32_e32 vcc, s19, v10
	v_cmp_ge_u32_e64 s[0:1], s17, v11
	s_or_b64 s[0:1], vcc, s[0:1]
                                        ; implicit-def: $vgpr16
                                        ; implicit-def: $vgpr18
                                        ; implicit-def: $vgpr17
                                        ; implicit-def: $vgpr15
	s_and_saveexec_b64 s[6:7], s[0:1]
	s_cbranch_execz .LBB3_21
; %bb.16:
	v_cmp_gt_u32_e32 vcc, s19, v10
                                        ; implicit-def: $vgpr2_vgpr3
	s_and_saveexec_b64 s[0:1], vcc
	s_cbranch_execz .LBB3_18
; %bb.17:
	v_lshlrev_b32_e32 v2, 3, v10
	ds_read_b64 v[2:3], v2
.LBB3_18:
	s_or_b64 exec, exec, s[0:1]
	v_cmp_le_u32_e64 s[0:1], s17, v11
	v_cmp_gt_u32_e64 s[2:3], s17, v11
                                        ; implicit-def: $vgpr4_vgpr5
	s_and_saveexec_b64 s[4:5], s[2:3]
	s_cbranch_execz .LBB3_20
; %bb.19:
	v_lshlrev_b32_e32 v4, 3, v11
	ds_read_b64 v[4:5], v4
.LBB3_20:
	s_or_b64 exec, exec, s[4:5]
	s_waitcnt lgkmcnt(0)
	v_cmp_le_i64_e64 s[2:3], v[4:5], v[2:3]
	s_and_b64 s[2:3], vcc, s[2:3]
	s_or_b64 vcc, s[0:1], s[2:3]
	v_mov_b32_e32 v16, s17
	v_mov_b32_e32 v19, s19
	v_cndmask_b32_e32 v15, v11, v10, vcc
	v_cndmask_b32_e32 v6, v16, v19, vcc
	v_add_u32_e32 v12, 1, v15
	v_add_u32_e32 v6, -1, v6
	v_min_u32_e32 v6, v12, v6
	v_lshlrev_b32_e32 v6, 3, v6
	ds_read_b64 v[6:7], v6
	v_cndmask_b32_e32 v20, v10, v12, vcc
	v_cndmask_b32_e32 v18, v12, v11, vcc
	v_cmp_gt_u32_e64 s[2:3], s19, v20
	v_cmp_le_u32_e64 s[0:1], s17, v18
	s_waitcnt lgkmcnt(0)
	v_cndmask_b32_e32 v9, v7, v5, vcc
	v_cndmask_b32_e32 v8, v6, v4, vcc
	;; [unrolled: 1-line block ×4, first 2 shown]
	v_cmp_le_i64_e64 s[4:5], v[8:9], v[6:7]
	s_and_b64 s[2:3], s[2:3], s[4:5]
	s_or_b64 s[0:1], s[0:1], s[2:3]
	v_cndmask_b32_e64 v17, v18, v20, s[0:1]
	v_cndmask_b32_e64 v10, v16, v19, s[0:1]
	v_add_u32_e32 v21, 1, v17
	v_add_u32_e32 v10, -1, v10
	v_min_u32_e32 v10, v21, v10
	v_lshlrev_b32_e32 v10, 3, v10
	ds_read_b64 v[10:11], v10
	v_cndmask_b32_e64 v23, v20, v21, s[0:1]
	v_cndmask_b32_e64 v22, v21, v18, s[0:1]
	v_cmp_gt_u32_e64 s[2:3], s19, v23
	v_cndmask_b32_e32 v3, v5, v3, vcc
	s_waitcnt lgkmcnt(0)
	v_cndmask_b32_e64 v13, v11, v9, s[0:1]
	v_cndmask_b32_e64 v12, v10, v8, s[0:1]
	;; [unrolled: 1-line block ×4, first 2 shown]
	v_cmp_le_i64_e64 s[4:5], v[12:13], v[10:11]
	v_cndmask_b32_e32 v2, v4, v2, vcc
	v_cmp_le_u32_e32 vcc, s17, v22
	s_and_b64 s[2:3], s[2:3], s[4:5]
	s_or_b64 vcc, vcc, s[2:3]
	v_cndmask_b32_e32 v18, v22, v23, vcc
	v_cndmask_b32_e32 v4, v16, v19, vcc
	v_add_u32_e32 v16, 1, v18
	v_add_u32_e32 v4, -1, v4
	v_min_u32_e32 v4, v16, v4
	v_lshlrev_b32_e32 v4, 3, v4
	ds_read_b64 v[20:21], v4
	v_cndmask_b32_e64 v5, v9, v7, s[0:1]
	v_cndmask_b32_e64 v4, v8, v6, s[0:1]
	v_cndmask_b32_e32 v7, v13, v11, vcc
	v_cndmask_b32_e32 v6, v12, v10, vcc
	s_waitcnt lgkmcnt(0)
	v_cndmask_b32_e32 v9, v21, v13, vcc
	v_cndmask_b32_e32 v8, v20, v12, vcc
	;; [unrolled: 1-line block ×6, first 2 shown]
	v_cmp_gt_u32_e64 s[0:1], s19, v13
	v_cmp_le_i64_e64 s[2:3], v[8:9], v[10:11]
	v_cmp_le_u32_e32 vcc, s17, v12
	s_and_b64 s[0:1], s[0:1], s[2:3]
	s_or_b64 vcc, vcc, s[0:1]
	v_cndmask_b32_e32 v16, v12, v13, vcc
	v_cndmask_b32_e32 v9, v9, v11, vcc
	;; [unrolled: 1-line block ×3, first 2 shown]
.LBB3_21:
	s_or_b64 exec, exec, s[6:7]
	s_add_u32 s26, s12, s22
	s_addc_u32 s28, s13, 0
	s_add_u32 s29, s12, s24
	v_cndmask_b32_e64 v10, 0, 1, s[20:21]
	s_addc_u32 s30, s13, 0
	v_cmp_gt_u32_e64 s[4:5], s19, v0
	v_cmp_ne_u32_e64 s[0:1], 1, v10
	s_andn2_b64 vcc, exec, s[20:21]
	v_cmp_le_u32_e64 s[2:3], s19, v0
	s_barrier
	s_cbranch_vccnz .LBB3_23
; %bb.22:
	v_subrev_u32_e32 v10, s19, v0
	v_mov_b32_e32 v11, s30
	v_add_co_u32_e32 v10, vcc, s29, v10
	v_addc_co_u32_e32 v11, vcc, 0, v11, vcc
	v_mov_b32_e32 v12, s28
	v_add_co_u32_e32 v13, vcc, s26, v0
	v_addc_co_u32_e32 v19, vcc, 0, v12, vcc
	v_cndmask_b32_e64 v11, v11, v19, s[4:5]
	v_cndmask_b32_e64 v10, v10, v13, s[4:5]
	s_movk_i32 s4, 0x100
	global_load_ubyte v20, v[10:11], off
	v_or_b32_e32 v10, 0x100, v0
	v_add_co_u32_e32 v12, vcc, s4, v13
	v_addc_co_u32_e32 v11, vcc, 0, v19, vcc
	v_subrev_u32_e32 v21, s19, v10
	v_mov_b32_e32 v22, s30
	v_add_co_u32_e32 v21, vcc, s29, v21
	v_addc_co_u32_e32 v22, vcc, 0, v22, vcc
	v_cmp_gt_u32_e32 vcc, s19, v10
	v_cndmask_b32_e32 v11, v22, v11, vcc
	v_cndmask_b32_e32 v10, v21, v12, vcc
	s_movk_i32 s4, 0x200
	global_load_ubyte v21, v[10:11], off
	v_or_b32_e32 v10, 0x200, v0
	v_add_co_u32_e32 v12, vcc, s4, v13
	v_addc_co_u32_e32 v11, vcc, 0, v19, vcc
	v_subrev_u32_e32 v22, s19, v10
	v_mov_b32_e32 v23, s30
	v_add_co_u32_e32 v22, vcc, s29, v22
	v_addc_co_u32_e32 v23, vcc, 0, v23, vcc
	v_cmp_gt_u32_e32 vcc, s19, v10
	v_cndmask_b32_e32 v11, v23, v11, vcc
	v_cndmask_b32_e32 v10, v22, v12, vcc
	global_load_ubyte v22, v[10:11], off
	v_or_b32_e32 v12, 0x300, v0
	v_subrev_u32_e32 v11, s19, v12
	v_mov_b32_e32 v10, s30
	v_add_co_u32_e32 v23, vcc, s29, v11
	s_movk_i32 s4, 0x300
	v_addc_co_u32_e32 v10, vcc, 0, v10, vcc
	v_add_co_u32_e32 v13, vcc, s4, v13
	v_addc_co_u32_e32 v11, vcc, 0, v19, vcc
	v_cmp_gt_u32_e32 vcc, s19, v12
	v_cndmask_b32_e32 v11, v10, v11, vcc
	v_cndmask_b32_e32 v10, v23, v13, vcc
	s_mov_b64 s[4:5], -1
	s_waitcnt vmcnt(2)
	ds_write_b8 v0, v20
	s_waitcnt vmcnt(1)
	ds_write_b8 v0, v21 offset:256
	s_waitcnt vmcnt(0)
	ds_write_b8 v0, v22 offset:512
	s_cbranch_execz .LBB3_24
	s_branch .LBB3_43
.LBB3_23:
	s_mov_b64 s[4:5], 0
                                        ; implicit-def: $vgpr12
                                        ; implicit-def: $vgpr10_vgpr11
.LBB3_24:
	s_mov_b64 s[6:7], 0
                                        ; implicit-def: $vgpr10_vgpr11
	s_and_saveexec_b64 s[8:9], s[2:3]
	s_xor_b64 s[2:3], exec, s[8:9]
	s_cbranch_execnz .LBB3_72
; %bb.25:
	s_andn2_saveexec_b64 s[2:3], s[2:3]
	s_cbranch_execnz .LBB3_75
.LBB3_26:
	s_or_b64 exec, exec, s[2:3]
	s_and_saveexec_b64 s[2:3], s[6:7]
	s_cbranch_execz .LBB3_28
.LBB3_27:
	global_load_ubyte v10, v[10:11], off
	s_waitcnt vmcnt(0)
	ds_write_b8 v0, v10
.LBB3_28:
	s_or_b64 exec, exec, s[2:3]
	v_or_b32_e32 v12, 0x100, v0
	v_cmp_le_u32_e32 vcc, s19, v12
	s_mov_b64 s[2:3], -1
	v_pk_mov_b32 v[10:11], s[22:23], s[22:23] op_sel:[0,1]
	s_and_saveexec_b64 s[6:7], vcc
; %bb.29:
	v_subrev_u32_e32 v12, s19, v12
	v_cmp_gt_u32_e32 vcc, s27, v12
	v_pk_mov_b32 v[10:11], s[24:25], s[24:25] op_sel:[0,1]
	s_orn2_b64 s[2:3], vcc, exec
; %bb.30:
	s_or_b64 exec, exec, s[6:7]
	s_and_saveexec_b64 s[6:7], s[2:3]
	s_cbranch_execz .LBB3_32
; %bb.31:
	v_mov_b32_e32 v13, s13
	v_add_co_u32_e32 v10, vcc, s12, v10
	v_addc_co_u32_e32 v11, vcc, v13, v11, vcc
	v_add_co_u32_e32 v10, vcc, v10, v12
	v_addc_co_u32_e32 v11, vcc, 0, v11, vcc
	global_load_ubyte v10, v[10:11], off
	s_waitcnt vmcnt(0)
	ds_write_b8 v0, v10 offset:256
.LBB3_32:
	s_or_b64 exec, exec, s[6:7]
	v_or_b32_e32 v12, 0x200, v0
	v_cmp_le_u32_e32 vcc, s19, v12
	s_mov_b64 s[2:3], -1
	v_pk_mov_b32 v[10:11], s[22:23], s[22:23] op_sel:[0,1]
	s_and_saveexec_b64 s[6:7], vcc
; %bb.33:
	v_subrev_u32_e32 v12, s19, v12
	v_cmp_gt_u32_e32 vcc, s27, v12
	v_pk_mov_b32 v[10:11], s[24:25], s[24:25] op_sel:[0,1]
	s_orn2_b64 s[2:3], vcc, exec
; %bb.34:
	s_or_b64 exec, exec, s[6:7]
	s_and_saveexec_b64 s[6:7], s[2:3]
	s_cbranch_execz .LBB3_36
; %bb.35:
	v_mov_b32_e32 v13, s13
	v_add_co_u32_e32 v10, vcc, s12, v10
	v_addc_co_u32_e32 v11, vcc, v13, v11, vcc
	v_add_co_u32_e32 v10, vcc, v10, v12
	v_addc_co_u32_e32 v11, vcc, 0, v11, vcc
	global_load_ubyte v10, v[10:11], off
	s_waitcnt vmcnt(0)
	ds_write_b8 v0, v10 offset:512
.LBB3_36:
	s_or_b64 exec, exec, s[6:7]
	v_or_b32_e32 v13, 0x300, v0
	v_cmp_le_u32_e32 vcc, s19, v13
                                        ; implicit-def: $vgpr12
                                        ; implicit-def: $vgpr10_vgpr11
	s_and_saveexec_b64 s[2:3], vcc
	s_xor_b64 s[2:3], exec, s[2:3]
	s_cbranch_execz .LBB3_40
; %bb.37:
	v_subrev_u32_e32 v13, s19, v13
	v_cmp_gt_u32_e32 vcc, s27, v13
	s_mov_b64 s[8:9], s[4:5]
                                        ; implicit-def: $vgpr12
                                        ; implicit-def: $vgpr10_vgpr11
	s_and_saveexec_b64 s[6:7], vcc
; %bb.38:
	v_mov_b32_e32 v11, s30
	v_add_co_u32_e32 v10, vcc, s29, v13
	v_or_b32_e32 v12, 0x300, v0
	v_addc_co_u32_e32 v11, vcc, 0, v11, vcc
	s_or_b64 s[8:9], s[4:5], exec
; %bb.39:
	s_or_b64 exec, exec, s[6:7]
	s_andn2_b64 s[4:5], s[4:5], exec
	s_and_b64 s[6:7], s[8:9], exec
	s_or_b64 s[4:5], s[4:5], s[6:7]
.LBB3_40:
	s_andn2_saveexec_b64 s[2:3], s[2:3]
; %bb.41:
	v_mov_b32_e32 v10, s28
	v_add_co_u32_e32 v11, vcc, s26, v0
	v_addc_co_u32_e32 v12, vcc, 0, v10, vcc
	v_add_co_u32_e32 v10, vcc, 0x300, v11
	v_addc_co_u32_e32 v11, vcc, 0, v12, vcc
	v_or_b32_e32 v12, 0x300, v0
	s_or_b64 s[4:5], s[4:5], exec
; %bb.42:
	s_or_b64 exec, exec, s[2:3]
.LBB3_43:
	s_and_saveexec_b64 s[2:3], s[4:5]
	s_cbranch_execz .LBB3_45
; %bb.44:
	global_load_ubyte v10, v[10:11], off
	s_waitcnt vmcnt(0)
	ds_write_b8 v12, v10
.LBB3_45:
	s_or_b64 exec, exec, s[2:3]
	s_and_b64 vcc, exec, s[0:1]
	v_add_u32_e32 v10, s18, v14
	s_waitcnt lgkmcnt(0)
	s_barrier
	s_cbranch_vccnz .LBB3_47
; %bb.46:
	ds_read_u8 v11, v17
	ds_read_u8 v12, v18
	;; [unrolled: 1-line block ×3, first 2 shown]
	v_mov_b32_e32 v13, 0
	s_waitcnt lgkmcnt(2)
	v_lshlrev_b16_e32 v11, 8, v11
	s_mov_b64 s[0:1], -1
	s_waitcnt lgkmcnt(0)
	v_or_b32_e32 v11, v19, v11
	global_store_byte v10, v12, s[14:15] offset:2
	global_store_short v10, v11, s[14:15]
	s_cbranch_execz .LBB3_48
	s_branch .LBB3_57
.LBB3_47:
	s_mov_b64 s[0:1], 0
                                        ; implicit-def: $vgpr12_vgpr13
.LBB3_48:
	v_cmp_gt_u32_e32 vcc, s17, v14
	s_and_saveexec_b64 s[2:3], vcc
	s_cbranch_execz .LBB3_50
; %bb.49:
	ds_read_u8 v11, v15
	s_waitcnt lgkmcnt(0)
	global_store_byte v10, v11, s[14:15]
.LBB3_50:
	s_or_b64 exec, exec, s[2:3]
	v_or_b32_e32 v11, 1, v14
	v_cmp_gt_u32_e32 vcc, s17, v11
	s_and_saveexec_b64 s[2:3], vcc
	s_cbranch_execz .LBB3_52
; %bb.51:
	ds_read_u8 v11, v17
	s_waitcnt lgkmcnt(0)
	global_store_byte v10, v11, s[14:15] offset:1
.LBB3_52:
	s_or_b64 exec, exec, s[2:3]
	v_or_b32_e32 v11, 2, v14
	v_cmp_gt_u32_e32 vcc, s17, v11
	s_and_saveexec_b64 s[2:3], vcc
	s_cbranch_execz .LBB3_54
; %bb.53:
	ds_read_u8 v11, v18
	s_waitcnt lgkmcnt(0)
	global_store_byte v10, v11, s[14:15] offset:2
.LBB3_54:
	s_or_b64 exec, exec, s[2:3]
	v_or_b32_e32 v11, 3, v14
	v_cmp_gt_u32_e32 vcc, s17, v11
	s_and_saveexec_b64 s[2:3], vcc
                                        ; implicit-def: $vgpr12_vgpr13
; %bb.55:
	v_mov_b32_e32 v13, 0
	s_or_b64 s[0:1], s[0:1], exec
; %bb.56:
	s_or_b64 exec, exec, s[2:3]
.LBB3_57:
	s_and_saveexec_b64 s[2:3], s[0:1]
	s_cbranch_execz .LBB3_59
; %bb.58:
	ds_read_u8 v12, v16
	v_mov_b32_e32 v11, s15
	v_add_co_u32_e32 v10, vcc, s14, v10
	v_addc_co_u32_e32 v11, vcc, v11, v13, vcc
	s_waitcnt lgkmcnt(0)
	global_store_byte v[10:11], v12, off offset:3
.LBB3_59:
	s_or_b64 exec, exec, s[2:3]
	v_and_b32_e32 v10, 0xf8, v0
	v_lshl_add_u32 v10, v14, 3, v10
	s_barrier
	s_barrier
	ds_write2_b64 v10, v[2:3], v[4:5] offset1:1
	ds_write2_b64 v10, v[6:7], v[8:9] offset0:2 offset1:3
	v_lshrrev_b32_e32 v2, 2, v0
	v_and_b32_e32 v2, 56, v2
	v_or_b32_e32 v12, 0x100, v0
	v_add_u32_e32 v13, v1, v2
	v_lshrrev_b32_e32 v2, 2, v12
	v_and_b32_e32 v2, 0x78, v2
	v_or_b32_e32 v11, 0x200, v0
	s_mov_b32 s19, 0
	v_add_u32_e32 v6, v1, v2
	v_lshrrev_b32_e32 v2, 2, v11
	s_lshl_b64 s[0:1], s[18:19], 3
	v_and_b32_e32 v2, 0xb8, v2
	v_or_b32_e32 v10, 0x300, v0
	s_add_u32 s0, s10, s0
	v_add_u32_e32 v7, v1, v2
	v_lshrrev_b32_e32 v2, 2, v10
	s_addc_u32 s1, s11, s1
	v_and_b32_e32 v2, 0xf8, v2
	v_add_u32_e32 v14, v1, v2
	v_mov_b32_e32 v3, s1
	v_add_co_u32_e32 v2, vcc, s0, v1
	v_addc_co_u32_e32 v3, vcc, 0, v3, vcc
	s_and_b64 vcc, exec, s[20:21]
	s_waitcnt lgkmcnt(0)
	s_cbranch_vccz .LBB3_61
; %bb.60:
	s_barrier
	ds_read_b64 v[8:9], v13
	ds_read_b64 v[16:17], v6 offset:2048
	ds_read_b64 v[18:19], v7 offset:4096
	;; [unrolled: 1-line block ×3, first 2 shown]
	s_waitcnt lgkmcnt(3)
	global_store_dwordx2 v[2:3], v[8:9], off
	s_waitcnt lgkmcnt(2)
	global_store_dwordx2 v[2:3], v[16:17], off offset:2048
	v_add_co_u32_e32 v8, vcc, 0x1000, v2
	v_addc_co_u32_e32 v9, vcc, 0, v3, vcc
	s_waitcnt lgkmcnt(1)
	global_store_dwordx2 v[8:9], v[18:19], off
	s_mov_b64 s[0:1], -1
	s_cbranch_execz .LBB3_62
	s_branch .LBB3_67
.LBB3_61:
	s_mov_b64 s[0:1], 0
                                        ; implicit-def: $vgpr4_vgpr5
.LBB3_62:
	s_barrier
	s_waitcnt lgkmcnt(0)
	ds_read_b64 v[8:9], v6 offset:2048
	ds_read_b64 v[6:7], v7 offset:4096
	;; [unrolled: 1-line block ×3, first 2 shown]
	s_sub_i32 s2, s16, s18
	v_cmp_gt_u32_e32 vcc, s2, v0
	s_and_saveexec_b64 s[0:1], vcc
	s_cbranch_execnz .LBB3_76
; %bb.63:
	s_or_b64 exec, exec, s[0:1]
	v_cmp_gt_u32_e32 vcc, s2, v12
	s_and_saveexec_b64 s[0:1], vcc
	s_cbranch_execnz .LBB3_77
.LBB3_64:
	s_or_b64 exec, exec, s[0:1]
	v_cmp_gt_u32_e32 vcc, s2, v11
	s_and_saveexec_b64 s[0:1], vcc
	s_cbranch_execz .LBB3_66
.LBB3_65:
	v_add_co_u32_e32 v0, vcc, 0x1000, v2
	v_addc_co_u32_e32 v1, vcc, 0, v3, vcc
	s_waitcnt lgkmcnt(1)
	global_store_dwordx2 v[0:1], v[6:7], off
.LBB3_66:
	s_or_b64 exec, exec, s[0:1]
	v_cmp_gt_u32_e64 s[0:1], s2, v10
.LBB3_67:
	s_and_saveexec_b64 s[2:3], s[0:1]
	s_cbranch_execz .LBB3_69
; %bb.68:
	v_add_co_u32_e32 v0, vcc, 0x1000, v2
	v_addc_co_u32_e32 v1, vcc, 0, v3, vcc
	s_waitcnt lgkmcnt(0)
	global_store_dwordx2 v[0:1], v[4:5], off offset:2048
.LBB3_69:
	s_endpgm
.LBB3_70:
	s_waitcnt vmcnt(3)
	v_mov_b32_e32 v2, s28
	s_waitcnt vmcnt(2)
	v_add_co_u32_e32 v4, vcc, s7, v1
	v_mov_b32_e32 v3, 0
	v_addc_co_u32_e32 v5, vcc, 0, v2, vcc
	v_subrev_u32_e32 v2, s19, v0
	v_lshlrev_b64 v[2:3], 3, v[2:3]
	s_waitcnt vmcnt(1)
	v_mov_b32_e32 v6, s5
	v_add_co_u32_e32 v2, vcc, s4, v2
	v_addc_co_u32_e32 v3, vcc, v6, v3, vcc
	v_cmp_gt_u32_e32 vcc, s19, v0
	v_cndmask_b32_e32 v3, v3, v5, vcc
	v_cndmask_b32_e32 v2, v2, v4, vcc
	global_load_dwordx2 v[2:3], v[2:3], off
	s_or_b64 exec, exec, s[0:1]
	v_cmp_gt_u32_e32 vcc, s17, v12
	s_and_saveexec_b64 s[2:3], vcc
	s_cbranch_execz .LBB3_6
.LBB3_71:
	v_mov_b32_e32 v13, 0
	s_waitcnt vmcnt(2)
	v_lshlrev_b64 v[4:5], 3, v[12:13]
	v_mov_b32_e32 v11, s28
	v_add_co_u32_e32 v15, vcc, s7, v4
	v_addc_co_u32_e32 v11, vcc, v11, v5, vcc
	v_cmp_gt_u32_e32 vcc, s19, v12
	v_subrev_u32_e32 v12, s19, v12
	v_lshlrev_b64 v[4:5], 3, v[12:13]
	v_mov_b32_e32 v12, s5
	v_add_co_u32_e64 v4, s[0:1], s4, v4
	v_addc_co_u32_e64 v5, s[0:1], v12, v5, s[0:1]
	v_cndmask_b32_e32 v5, v5, v11, vcc
	v_cndmask_b32_e32 v4, v4, v15, vcc
	global_load_dwordx2 v[4:5], v[4:5], off
	s_or_b64 exec, exec, s[2:3]
	v_cmp_gt_u32_e32 vcc, s17, v10
	s_and_saveexec_b64 s[0:1], vcc
	s_cbranch_execnz .LBB3_7
	s_branch .LBB3_8
.LBB3_72:
	v_subrev_u32_e32 v12, s19, v0
	v_cmp_gt_u32_e32 vcc, s27, v12
                                        ; implicit-def: $vgpr10_vgpr11
	s_and_saveexec_b64 s[8:9], vcc
	s_xor_b64 s[8:9], exec, s[8:9]
; %bb.73:
	v_mov_b32_e32 v11, s30
	v_add_co_u32_e32 v10, vcc, s29, v12
	s_mov_b64 s[6:7], exec
	v_addc_co_u32_e32 v11, vcc, 0, v11, vcc
; %bb.74:
	s_or_b64 exec, exec, s[8:9]
	s_and_b64 s[6:7], s[6:7], exec
	s_andn2_saveexec_b64 s[2:3], s[2:3]
	s_cbranch_execz .LBB3_26
.LBB3_75:
	v_mov_b32_e32 v11, s28
	v_add_co_u32_e32 v10, vcc, s26, v0
	v_addc_co_u32_e32 v11, vcc, 0, v11, vcc
	s_or_b64 s[6:7], s[6:7], exec
	s_or_b64 exec, exec, s[2:3]
	s_and_saveexec_b64 s[2:3], s[6:7]
	s_cbranch_execnz .LBB3_27
	s_branch .LBB3_28
.LBB3_76:
	ds_read_b64 v[0:1], v13
	s_waitcnt lgkmcnt(0)
	global_store_dwordx2 v[2:3], v[0:1], off
	s_or_b64 exec, exec, s[0:1]
	v_cmp_gt_u32_e32 vcc, s2, v12
	s_and_saveexec_b64 s[0:1], vcc
	s_cbranch_execz .LBB3_64
.LBB3_77:
	s_waitcnt lgkmcnt(2)
	global_store_dwordx2 v[2:3], v[8:9], off offset:2048
	s_or_b64 exec, exec, s[0:1]
	v_cmp_gt_u32_e32 vcc, s2, v11
	s_and_saveexec_b64 s[0:1], vcc
	s_cbranch_execnz .LBB3_65
	s_branch .LBB3_66
	.section	.rodata,"a",@progbits
	.p2align	6, 0x0
	.amdhsa_kernel _ZN7rocprim17ROCPRIM_304000_NS6detail35device_block_merge_mergepath_kernelINS1_37wrapped_merge_sort_block_merge_configINS0_14default_configElN2at4cuda3cub6detail10OpaqueTypeILi1EEEEEPlSC_PSA_SD_jNS1_19radix_merge_compareILb1ELb0ElNS0_19identity_decomposerEEEEEvT0_T1_T2_T3_T4_SL_jT5_PKSL_NS1_7vsmem_tE
		.amdhsa_group_segment_fixed_size 8448
		.amdhsa_private_segment_fixed_size 0
		.amdhsa_kernarg_size 320
		.amdhsa_user_sgpr_count 6
		.amdhsa_user_sgpr_private_segment_buffer 1
		.amdhsa_user_sgpr_dispatch_ptr 0
		.amdhsa_user_sgpr_queue_ptr 0
		.amdhsa_user_sgpr_kernarg_segment_ptr 1
		.amdhsa_user_sgpr_dispatch_id 0
		.amdhsa_user_sgpr_flat_scratch_init 0
		.amdhsa_user_sgpr_kernarg_preload_length 0
		.amdhsa_user_sgpr_kernarg_preload_offset 0
		.amdhsa_user_sgpr_private_segment_size 0
		.amdhsa_uses_dynamic_stack 0
		.amdhsa_system_sgpr_private_segment_wavefront_offset 0
		.amdhsa_system_sgpr_workgroup_id_x 1
		.amdhsa_system_sgpr_workgroup_id_y 1
		.amdhsa_system_sgpr_workgroup_id_z 1
		.amdhsa_system_sgpr_workgroup_info 0
		.amdhsa_system_vgpr_workitem_id 0
		.amdhsa_next_free_vgpr 24
		.amdhsa_next_free_sgpr 31
		.amdhsa_accum_offset 24
		.amdhsa_reserve_vcc 1
		.amdhsa_reserve_flat_scratch 0
		.amdhsa_float_round_mode_32 0
		.amdhsa_float_round_mode_16_64 0
		.amdhsa_float_denorm_mode_32 3
		.amdhsa_float_denorm_mode_16_64 3
		.amdhsa_dx10_clamp 1
		.amdhsa_ieee_mode 1
		.amdhsa_fp16_overflow 0
		.amdhsa_tg_split 0
		.amdhsa_exception_fp_ieee_invalid_op 0
		.amdhsa_exception_fp_denorm_src 0
		.amdhsa_exception_fp_ieee_div_zero 0
		.amdhsa_exception_fp_ieee_overflow 0
		.amdhsa_exception_fp_ieee_underflow 0
		.amdhsa_exception_fp_ieee_inexact 0
		.amdhsa_exception_int_div_zero 0
	.end_amdhsa_kernel
	.section	.text._ZN7rocprim17ROCPRIM_304000_NS6detail35device_block_merge_mergepath_kernelINS1_37wrapped_merge_sort_block_merge_configINS0_14default_configElN2at4cuda3cub6detail10OpaqueTypeILi1EEEEEPlSC_PSA_SD_jNS1_19radix_merge_compareILb1ELb0ElNS0_19identity_decomposerEEEEEvT0_T1_T2_T3_T4_SL_jT5_PKSL_NS1_7vsmem_tE,"axG",@progbits,_ZN7rocprim17ROCPRIM_304000_NS6detail35device_block_merge_mergepath_kernelINS1_37wrapped_merge_sort_block_merge_configINS0_14default_configElN2at4cuda3cub6detail10OpaqueTypeILi1EEEEEPlSC_PSA_SD_jNS1_19radix_merge_compareILb1ELb0ElNS0_19identity_decomposerEEEEEvT0_T1_T2_T3_T4_SL_jT5_PKSL_NS1_7vsmem_tE,comdat
.Lfunc_end3:
	.size	_ZN7rocprim17ROCPRIM_304000_NS6detail35device_block_merge_mergepath_kernelINS1_37wrapped_merge_sort_block_merge_configINS0_14default_configElN2at4cuda3cub6detail10OpaqueTypeILi1EEEEEPlSC_PSA_SD_jNS1_19radix_merge_compareILb1ELb0ElNS0_19identity_decomposerEEEEEvT0_T1_T2_T3_T4_SL_jT5_PKSL_NS1_7vsmem_tE, .Lfunc_end3-_ZN7rocprim17ROCPRIM_304000_NS6detail35device_block_merge_mergepath_kernelINS1_37wrapped_merge_sort_block_merge_configINS0_14default_configElN2at4cuda3cub6detail10OpaqueTypeILi1EEEEEPlSC_PSA_SD_jNS1_19radix_merge_compareILb1ELb0ElNS0_19identity_decomposerEEEEEvT0_T1_T2_T3_T4_SL_jT5_PKSL_NS1_7vsmem_tE
                                        ; -- End function
	.section	.AMDGPU.csdata,"",@progbits
; Kernel info:
; codeLenInByte = 3284
; NumSgprs: 35
; NumVgprs: 24
; NumAgprs: 0
; TotalNumVgprs: 24
; ScratchSize: 0
; MemoryBound: 0
; FloatMode: 240
; IeeeMode: 1
; LDSByteSize: 8448 bytes/workgroup (compile time only)
; SGPRBlocks: 4
; VGPRBlocks: 2
; NumSGPRsForWavesPerEU: 35
; NumVGPRsForWavesPerEU: 24
; AccumOffset: 24
; Occupancy: 7
; WaveLimiterHint : 1
; COMPUTE_PGM_RSRC2:SCRATCH_EN: 0
; COMPUTE_PGM_RSRC2:USER_SGPR: 6
; COMPUTE_PGM_RSRC2:TRAP_HANDLER: 0
; COMPUTE_PGM_RSRC2:TGID_X_EN: 1
; COMPUTE_PGM_RSRC2:TGID_Y_EN: 1
; COMPUTE_PGM_RSRC2:TGID_Z_EN: 1
; COMPUTE_PGM_RSRC2:TIDIG_COMP_CNT: 0
; COMPUTE_PGM_RSRC3_GFX90A:ACCUM_OFFSET: 5
; COMPUTE_PGM_RSRC3_GFX90A:TG_SPLIT: 0
	.section	.text._ZN7rocprim17ROCPRIM_304000_NS6detail33device_block_merge_oddeven_kernelINS1_37wrapped_merge_sort_block_merge_configINS0_14default_configElN2at4cuda3cub6detail10OpaqueTypeILi1EEEEEPlSC_PSA_SD_jNS1_19radix_merge_compareILb1ELb0ElNS0_19identity_decomposerEEEEEvT0_T1_T2_T3_T4_SL_T5_,"axG",@progbits,_ZN7rocprim17ROCPRIM_304000_NS6detail33device_block_merge_oddeven_kernelINS1_37wrapped_merge_sort_block_merge_configINS0_14default_configElN2at4cuda3cub6detail10OpaqueTypeILi1EEEEEPlSC_PSA_SD_jNS1_19radix_merge_compareILb1ELb0ElNS0_19identity_decomposerEEEEEvT0_T1_T2_T3_T4_SL_T5_,comdat
	.protected	_ZN7rocprim17ROCPRIM_304000_NS6detail33device_block_merge_oddeven_kernelINS1_37wrapped_merge_sort_block_merge_configINS0_14default_configElN2at4cuda3cub6detail10OpaqueTypeILi1EEEEEPlSC_PSA_SD_jNS1_19radix_merge_compareILb1ELb0ElNS0_19identity_decomposerEEEEEvT0_T1_T2_T3_T4_SL_T5_ ; -- Begin function _ZN7rocprim17ROCPRIM_304000_NS6detail33device_block_merge_oddeven_kernelINS1_37wrapped_merge_sort_block_merge_configINS0_14default_configElN2at4cuda3cub6detail10OpaqueTypeILi1EEEEEPlSC_PSA_SD_jNS1_19radix_merge_compareILb1ELb0ElNS0_19identity_decomposerEEEEEvT0_T1_T2_T3_T4_SL_T5_
	.globl	_ZN7rocprim17ROCPRIM_304000_NS6detail33device_block_merge_oddeven_kernelINS1_37wrapped_merge_sort_block_merge_configINS0_14default_configElN2at4cuda3cub6detail10OpaqueTypeILi1EEEEEPlSC_PSA_SD_jNS1_19radix_merge_compareILb1ELb0ElNS0_19identity_decomposerEEEEEvT0_T1_T2_T3_T4_SL_T5_
	.p2align	8
	.type	_ZN7rocprim17ROCPRIM_304000_NS6detail33device_block_merge_oddeven_kernelINS1_37wrapped_merge_sort_block_merge_configINS0_14default_configElN2at4cuda3cub6detail10OpaqueTypeILi1EEEEEPlSC_PSA_SD_jNS1_19radix_merge_compareILb1ELb0ElNS0_19identity_decomposerEEEEEvT0_T1_T2_T3_T4_SL_T5_,@function
_ZN7rocprim17ROCPRIM_304000_NS6detail33device_block_merge_oddeven_kernelINS1_37wrapped_merge_sort_block_merge_configINS0_14default_configElN2at4cuda3cub6detail10OpaqueTypeILi1EEEEEPlSC_PSA_SD_jNS1_19radix_merge_compareILb1ELb0ElNS0_19identity_decomposerEEEEEvT0_T1_T2_T3_T4_SL_T5_: ; @_ZN7rocprim17ROCPRIM_304000_NS6detail33device_block_merge_oddeven_kernelINS1_37wrapped_merge_sort_block_merge_configINS0_14default_configElN2at4cuda3cub6detail10OpaqueTypeILi1EEEEEPlSC_PSA_SD_jNS1_19radix_merge_compareILb1ELb0ElNS0_19identity_decomposerEEEEEvT0_T1_T2_T3_T4_SL_T5_
; %bb.0:
	s_load_dwordx2 s[16:17], s[4:5], 0x20
	s_waitcnt lgkmcnt(0)
	s_lshr_b32 s2, s16, 8
	s_cmp_lg_u32 s6, s2
	s_cselect_b64 s[0:1], -1, 0
	s_cmp_eq_u32 s6, s2
	s_cselect_b64 s[18:19], -1, 0
	s_lshl_b32 s20, s6, 8
	s_sub_i32 s2, s16, s20
	v_cmp_gt_u32_e64 s[2:3], s2, v0
	s_or_b64 s[0:1], s[0:1], s[2:3]
	s_and_saveexec_b64 s[8:9], s[0:1]
	s_cbranch_execz .LBB4_26
; %bb.1:
	s_load_dwordx8 s[8:15], s[4:5], 0x0
	s_mov_b32 s21, 0
	s_lshl_b64 s[0:1], s[20:21], 3
	v_lshlrev_b32_e32 v1, 3, v0
	v_add_u32_e32 v4, s20, v0
	s_waitcnt lgkmcnt(0)
	s_add_u32 s0, s8, s0
	s_addc_u32 s1, s9, s1
	s_add_u32 s4, s12, s20
	s_addc_u32 s5, s13, 0
	global_load_ubyte v6, v0, s[4:5]
	global_load_dwordx2 v[2:3], v1, s[0:1]
	s_lshr_b32 s0, s17, 8
	s_sub_i32 s1, 0, s0
	s_and_b32 s1, s6, s1
	s_and_b32 s0, s1, s0
	s_lshl_b32 s22, s1, 8
	s_sub_i32 s6, 0, s17
	s_cmp_eq_u32 s0, 0
	s_cselect_b64 s[0:1], -1, 0
	s_and_b64 s[4:5], s[0:1], exec
	s_cselect_b32 s21, s17, s6
	s_add_i32 s21, s21, s22
	s_cmp_lt_u32 s21, s16
	s_cbranch_scc1 .LBB4_6
; %bb.2:
	s_and_b64 vcc, exec, s[18:19]
	s_cbranch_vccz .LBB4_7
; %bb.3:
	v_cmp_gt_u32_e32 vcc, s16, v4
	s_mov_b64 s[6:7], 0
	s_mov_b64 s[4:5], 0
                                        ; implicit-def: $vgpr0_vgpr1
	s_and_saveexec_b64 s[12:13], vcc
	s_cbranch_execz .LBB4_5
; %bb.4:
	v_mov_b32_e32 v5, 0
	v_mov_b32_e32 v1, s15
	v_add_co_u32_e32 v0, vcc, s14, v4
	v_addc_co_u32_e32 v1, vcc, 0, v1, vcc
	v_lshlrev_b64 v[8:9], 3, v[4:5]
	v_mov_b32_e32 v5, s11
	v_add_co_u32_e32 v8, vcc, s10, v8
	s_mov_b64 s[4:5], exec
	v_addc_co_u32_e32 v9, vcc, v5, v9, vcc
	s_waitcnt vmcnt(0)
	global_store_dwordx2 v[8:9], v[2:3], off
.LBB4_5:
	s_or_b64 exec, exec, s[12:13]
	s_and_b64 vcc, exec, s[6:7]
	s_cbranch_vccnz .LBB4_8
	s_branch .LBB4_9
.LBB4_6:
	s_mov_b64 s[4:5], 0
                                        ; implicit-def: $vgpr0_vgpr1
	s_cbranch_execnz .LBB4_10
	s_branch .LBB4_24
.LBB4_7:
	s_mov_b64 s[4:5], 0
                                        ; implicit-def: $vgpr0_vgpr1
	s_cbranch_execz .LBB4_9
.LBB4_8:
	v_mov_b32_e32 v5, 0
	v_lshlrev_b64 v[0:1], 3, v[4:5]
	v_mov_b32_e32 v5, s11
	v_add_co_u32_e32 v0, vcc, s10, v0
	v_addc_co_u32_e32 v1, vcc, v5, v1, vcc
	s_waitcnt vmcnt(0)
	global_store_dwordx2 v[0:1], v[2:3], off
	v_mov_b32_e32 v1, s15
	v_add_co_u32_e32 v0, vcc, s14, v4
	v_addc_co_u32_e32 v1, vcc, 0, v1, vcc
	s_or_b64 s[4:5], s[4:5], exec
.LBB4_9:
	s_branch .LBB4_24
.LBB4_10:
	s_min_u32 s12, s21, s16
	s_add_i32 s6, s12, s17
	s_min_u32 s13, s6, s16
	s_min_u32 s6, s22, s12
	s_add_i32 s22, s22, s12
	v_subrev_u32_e32 v0, s22, v4
	v_add_u32_e32 v4, s6, v0
	s_and_b64 vcc, exec, s[18:19]
	s_cbranch_vccz .LBB4_18
; %bb.11:
                                        ; implicit-def: $vgpr0_vgpr1
	s_and_saveexec_b64 s[6:7], s[2:3]
	s_cbranch_execz .LBB4_17
; %bb.12:
	s_cmp_ge_u32 s21, s13
	v_mov_b32_e32 v5, s12
	s_cbranch_scc1 .LBB4_16
; %bb.13:
	s_mov_b64 s[2:3], 0
	v_mov_b32_e32 v7, s13
	v_mov_b32_e32 v5, s12
	;; [unrolled: 1-line block ×4, first 2 shown]
.LBB4_14:                               ; =>This Inner Loop Header: Depth=1
	v_add_u32_e32 v0, v5, v7
	v_lshrrev_b32_e32 v0, 1, v0
	v_lshlrev_b64 v[10:11], 3, v[0:1]
	v_add_co_u32_e32 v10, vcc, s8, v10
	v_addc_co_u32_e32 v11, vcc, v8, v11, vcc
	global_load_dwordx2 v[10:11], v[10:11], off
	v_add_u32_e32 v9, 1, v0
	s_waitcnt vmcnt(0)
	v_cmp_gt_i64_e32 vcc, v[10:11], v[2:3]
	v_cndmask_b32_e64 v12, 0, 1, vcc
	v_cmp_le_i64_e32 vcc, v[2:3], v[10:11]
	v_cndmask_b32_e64 v10, 0, 1, vcc
	v_cndmask_b32_e64 v10, v10, v12, s[0:1]
	v_and_b32_e32 v10, 1, v10
	v_cmp_eq_u32_e32 vcc, 1, v10
	v_cndmask_b32_e32 v7, v0, v7, vcc
	v_cndmask_b32_e32 v5, v5, v9, vcc
	v_cmp_ge_u32_e32 vcc, v5, v7
	s_or_b64 s[2:3], vcc, s[2:3]
	s_andn2_b64 exec, exec, s[2:3]
	s_cbranch_execnz .LBB4_14
; %bb.15:
	s_or_b64 exec, exec, s[2:3]
.LBB4_16:
	v_add_u32_e32 v0, v5, v4
	v_mov_b32_e32 v1, 0
	v_lshlrev_b64 v[8:9], 3, v[0:1]
	v_mov_b32_e32 v1, s11
	v_add_co_u32_e32 v8, vcc, s10, v8
	v_addc_co_u32_e32 v9, vcc, v1, v9, vcc
	v_mov_b32_e32 v1, s15
	v_add_co_u32_e32 v0, vcc, s14, v0
	s_waitcnt vmcnt(0)
	global_store_dwordx2 v[8:9], v[2:3], off
	v_addc_co_u32_e32 v1, vcc, 0, v1, vcc
	s_or_b64 s[4:5], s[4:5], exec
.LBB4_17:
	s_or_b64 exec, exec, s[6:7]
	s_branch .LBB4_24
.LBB4_18:
                                        ; implicit-def: $vgpr0_vgpr1
	s_cbranch_execz .LBB4_24
; %bb.19:
	s_cmp_ge_u32 s21, s13
	v_mov_b32_e32 v5, s12
	s_cbranch_scc1 .LBB4_23
; %bb.20:
	s_mov_b64 s[2:3], 0
	v_mov_b32_e32 v7, s13
	v_mov_b32_e32 v5, s12
	;; [unrolled: 1-line block ×4, first 2 shown]
.LBB4_21:                               ; =>This Inner Loop Header: Depth=1
	v_add_u32_e32 v0, v5, v7
	v_lshrrev_b32_e32 v0, 1, v0
	v_lshlrev_b64 v[10:11], 3, v[0:1]
	v_add_co_u32_e32 v10, vcc, s8, v10
	v_addc_co_u32_e32 v11, vcc, v8, v11, vcc
	global_load_dwordx2 v[10:11], v[10:11], off
	v_add_u32_e32 v9, 1, v0
	s_waitcnt vmcnt(0)
	v_cmp_gt_i64_e32 vcc, v[10:11], v[2:3]
	v_cndmask_b32_e64 v12, 0, 1, vcc
	v_cmp_le_i64_e32 vcc, v[2:3], v[10:11]
	v_cndmask_b32_e64 v10, 0, 1, vcc
	v_cndmask_b32_e64 v10, v10, v12, s[0:1]
	v_and_b32_e32 v10, 1, v10
	v_cmp_eq_u32_e32 vcc, 1, v10
	v_cndmask_b32_e32 v7, v0, v7, vcc
	v_cndmask_b32_e32 v5, v5, v9, vcc
	v_cmp_ge_u32_e32 vcc, v5, v7
	s_or_b64 s[2:3], vcc, s[2:3]
	s_andn2_b64 exec, exec, s[2:3]
	s_cbranch_execnz .LBB4_21
; %bb.22:
	s_or_b64 exec, exec, s[2:3]
.LBB4_23:
	v_add_u32_e32 v0, v5, v4
	v_mov_b32_e32 v1, 0
	v_lshlrev_b64 v[4:5], 3, v[0:1]
	v_mov_b32_e32 v1, s11
	v_add_co_u32_e32 v4, vcc, s10, v4
	v_addc_co_u32_e32 v5, vcc, v1, v5, vcc
	v_mov_b32_e32 v1, s15
	v_add_co_u32_e32 v0, vcc, s14, v0
	v_addc_co_u32_e32 v1, vcc, 0, v1, vcc
	s_mov_b64 s[4:5], -1
	s_waitcnt vmcnt(0)
	global_store_dwordx2 v[4:5], v[2:3], off
.LBB4_24:
	s_and_b64 exec, exec, s[4:5]
	s_cbranch_execz .LBB4_26
; %bb.25:
	s_waitcnt vmcnt(1)
	global_store_byte v[0:1], v6, off
.LBB4_26:
	s_endpgm
	.section	.rodata,"a",@progbits
	.p2align	6, 0x0
	.amdhsa_kernel _ZN7rocprim17ROCPRIM_304000_NS6detail33device_block_merge_oddeven_kernelINS1_37wrapped_merge_sort_block_merge_configINS0_14default_configElN2at4cuda3cub6detail10OpaqueTypeILi1EEEEEPlSC_PSA_SD_jNS1_19radix_merge_compareILb1ELb0ElNS0_19identity_decomposerEEEEEvT0_T1_T2_T3_T4_SL_T5_
		.amdhsa_group_segment_fixed_size 0
		.amdhsa_private_segment_fixed_size 0
		.amdhsa_kernarg_size 44
		.amdhsa_user_sgpr_count 6
		.amdhsa_user_sgpr_private_segment_buffer 1
		.amdhsa_user_sgpr_dispatch_ptr 0
		.amdhsa_user_sgpr_queue_ptr 0
		.amdhsa_user_sgpr_kernarg_segment_ptr 1
		.amdhsa_user_sgpr_dispatch_id 0
		.amdhsa_user_sgpr_flat_scratch_init 0
		.amdhsa_user_sgpr_kernarg_preload_length 0
		.amdhsa_user_sgpr_kernarg_preload_offset 0
		.amdhsa_user_sgpr_private_segment_size 0
		.amdhsa_uses_dynamic_stack 0
		.amdhsa_system_sgpr_private_segment_wavefront_offset 0
		.amdhsa_system_sgpr_workgroup_id_x 1
		.amdhsa_system_sgpr_workgroup_id_y 0
		.amdhsa_system_sgpr_workgroup_id_z 0
		.amdhsa_system_sgpr_workgroup_info 0
		.amdhsa_system_vgpr_workitem_id 0
		.amdhsa_next_free_vgpr 13
		.amdhsa_next_free_sgpr 23
		.amdhsa_accum_offset 16
		.amdhsa_reserve_vcc 1
		.amdhsa_reserve_flat_scratch 0
		.amdhsa_float_round_mode_32 0
		.amdhsa_float_round_mode_16_64 0
		.amdhsa_float_denorm_mode_32 3
		.amdhsa_float_denorm_mode_16_64 3
		.amdhsa_dx10_clamp 1
		.amdhsa_ieee_mode 1
		.amdhsa_fp16_overflow 0
		.amdhsa_tg_split 0
		.amdhsa_exception_fp_ieee_invalid_op 0
		.amdhsa_exception_fp_denorm_src 0
		.amdhsa_exception_fp_ieee_div_zero 0
		.amdhsa_exception_fp_ieee_overflow 0
		.amdhsa_exception_fp_ieee_underflow 0
		.amdhsa_exception_fp_ieee_inexact 0
		.amdhsa_exception_int_div_zero 0
	.end_amdhsa_kernel
	.section	.text._ZN7rocprim17ROCPRIM_304000_NS6detail33device_block_merge_oddeven_kernelINS1_37wrapped_merge_sort_block_merge_configINS0_14default_configElN2at4cuda3cub6detail10OpaqueTypeILi1EEEEEPlSC_PSA_SD_jNS1_19radix_merge_compareILb1ELb0ElNS0_19identity_decomposerEEEEEvT0_T1_T2_T3_T4_SL_T5_,"axG",@progbits,_ZN7rocprim17ROCPRIM_304000_NS6detail33device_block_merge_oddeven_kernelINS1_37wrapped_merge_sort_block_merge_configINS0_14default_configElN2at4cuda3cub6detail10OpaqueTypeILi1EEEEEPlSC_PSA_SD_jNS1_19radix_merge_compareILb1ELb0ElNS0_19identity_decomposerEEEEEvT0_T1_T2_T3_T4_SL_T5_,comdat
.Lfunc_end4:
	.size	_ZN7rocprim17ROCPRIM_304000_NS6detail33device_block_merge_oddeven_kernelINS1_37wrapped_merge_sort_block_merge_configINS0_14default_configElN2at4cuda3cub6detail10OpaqueTypeILi1EEEEEPlSC_PSA_SD_jNS1_19radix_merge_compareILb1ELb0ElNS0_19identity_decomposerEEEEEvT0_T1_T2_T3_T4_SL_T5_, .Lfunc_end4-_ZN7rocprim17ROCPRIM_304000_NS6detail33device_block_merge_oddeven_kernelINS1_37wrapped_merge_sort_block_merge_configINS0_14default_configElN2at4cuda3cub6detail10OpaqueTypeILi1EEEEEPlSC_PSA_SD_jNS1_19radix_merge_compareILb1ELb0ElNS0_19identity_decomposerEEEEEvT0_T1_T2_T3_T4_SL_T5_
                                        ; -- End function
	.section	.AMDGPU.csdata,"",@progbits
; Kernel info:
; codeLenInByte = 816
; NumSgprs: 27
; NumVgprs: 13
; NumAgprs: 0
; TotalNumVgprs: 13
; ScratchSize: 0
; MemoryBound: 0
; FloatMode: 240
; IeeeMode: 1
; LDSByteSize: 0 bytes/workgroup (compile time only)
; SGPRBlocks: 3
; VGPRBlocks: 1
; NumSGPRsForWavesPerEU: 27
; NumVGPRsForWavesPerEU: 13
; AccumOffset: 16
; Occupancy: 8
; WaveLimiterHint : 0
; COMPUTE_PGM_RSRC2:SCRATCH_EN: 0
; COMPUTE_PGM_RSRC2:USER_SGPR: 6
; COMPUTE_PGM_RSRC2:TRAP_HANDLER: 0
; COMPUTE_PGM_RSRC2:TGID_X_EN: 1
; COMPUTE_PGM_RSRC2:TGID_Y_EN: 0
; COMPUTE_PGM_RSRC2:TGID_Z_EN: 0
; COMPUTE_PGM_RSRC2:TIDIG_COMP_CNT: 0
; COMPUTE_PGM_RSRC3_GFX90A:ACCUM_OFFSET: 3
; COMPUTE_PGM_RSRC3_GFX90A:TG_SPLIT: 0
	.section	.text._ZN7rocprim17ROCPRIM_304000_NS6detail16transform_kernelINS1_24wrapped_transform_configINS0_14default_configElEElPlS6_NS0_8identityIlEEEEvT1_mT2_T3_,"axG",@progbits,_ZN7rocprim17ROCPRIM_304000_NS6detail16transform_kernelINS1_24wrapped_transform_configINS0_14default_configElEElPlS6_NS0_8identityIlEEEEvT1_mT2_T3_,comdat
	.protected	_ZN7rocprim17ROCPRIM_304000_NS6detail16transform_kernelINS1_24wrapped_transform_configINS0_14default_configElEElPlS6_NS0_8identityIlEEEEvT1_mT2_T3_ ; -- Begin function _ZN7rocprim17ROCPRIM_304000_NS6detail16transform_kernelINS1_24wrapped_transform_configINS0_14default_configElEElPlS6_NS0_8identityIlEEEEvT1_mT2_T3_
	.globl	_ZN7rocprim17ROCPRIM_304000_NS6detail16transform_kernelINS1_24wrapped_transform_configINS0_14default_configElEElPlS6_NS0_8identityIlEEEEvT1_mT2_T3_
	.p2align	8
	.type	_ZN7rocprim17ROCPRIM_304000_NS6detail16transform_kernelINS1_24wrapped_transform_configINS0_14default_configElEElPlS6_NS0_8identityIlEEEEvT1_mT2_T3_,@function
_ZN7rocprim17ROCPRIM_304000_NS6detail16transform_kernelINS1_24wrapped_transform_configINS0_14default_configElEElPlS6_NS0_8identityIlEEEEvT1_mT2_T3_: ; @_ZN7rocprim17ROCPRIM_304000_NS6detail16transform_kernelINS1_24wrapped_transform_configINS0_14default_configElEElPlS6_NS0_8identityIlEEEEvT1_mT2_T3_
; %bb.0:
	s_load_dword s7, s[4:5], 0x20
	s_load_dwordx4 s[0:3], s[4:5], 0x0
	s_load_dwordx2 s[8:9], s[4:5], 0x10
	s_lshl_b32 s10, s6, 9
	s_mov_b32 s11, 0
	s_waitcnt lgkmcnt(0)
	s_add_i32 s7, s7, -1
	s_lshl_b64 s[4:5], s[10:11], 3
	s_add_u32 s0, s0, s4
	s_addc_u32 s1, s1, s5
	v_lshlrev_b32_e32 v1, 3, v0
	v_mov_b32_e32 v2, s1
	v_add_co_u32_e32 v6, vcc, s0, v1
	s_cmp_lg_u32 s6, s7
	v_addc_co_u32_e32 v7, vcc, 0, v2, vcc
	s_cbranch_scc0 .LBB5_2
; %bb.1:
	global_load_dwordx2 v[2:3], v[6:7], off
	global_load_dwordx2 v[4:5], v[6:7], off offset:2048
	s_add_u32 s6, s8, s4
	s_addc_u32 s7, s9, s5
	s_waitcnt vmcnt(1)
	global_store_dwordx2 v1, v[2:3], s[6:7]
	s_mov_b64 s[6:7], -1
	s_cbranch_execz .LBB5_3
	s_branch .LBB5_10
.LBB5_2:
	s_mov_b64 s[6:7], 0
                                        ; implicit-def: $vgpr4_vgpr5
.LBB5_3:
	s_sub_i32 s2, s2, s10
	v_cmp_gt_u32_e32 vcc, s2, v0
                                        ; implicit-def: $vgpr2_vgpr3_vgpr4_vgpr5
	s_and_saveexec_b64 s[0:1], vcc
	s_cbranch_execz .LBB5_5
; %bb.4:
	global_load_dwordx2 v[2:3], v[6:7], off
.LBB5_5:
	s_or_b64 exec, exec, s[0:1]
	v_or_b32_e32 v0, 0x100, v0
	v_cmp_gt_u32_e64 s[0:1], s2, v0
	s_and_saveexec_b64 s[2:3], s[0:1]
	s_cbranch_execnz .LBB5_13
; %bb.6:
	s_or_b64 exec, exec, s[2:3]
	s_and_saveexec_b64 s[2:3], vcc
	s_cbranch_execnz .LBB5_14
.LBB5_7:
	s_or_b64 exec, exec, s[2:3]
	s_and_saveexec_b64 s[2:3], s[0:1]
.LBB5_8:
	s_or_b64 s[6:7], s[6:7], exec
.LBB5_9:
	s_or_b64 exec, exec, s[2:3]
.LBB5_10:
	s_and_saveexec_b64 s[0:1], s[6:7]
	s_cbranch_execnz .LBB5_12
; %bb.11:
	s_endpgm
.LBB5_12:
	s_add_u32 s0, s8, s4
	s_addc_u32 s1, s9, s5
	s_waitcnt vmcnt(0)
	global_store_dwordx2 v1, v[4:5], s[0:1] offset:2048
	s_endpgm
.LBB5_13:
	global_load_dwordx2 v[4:5], v[6:7], off offset:2048
	s_or_b64 exec, exec, s[2:3]
	s_and_saveexec_b64 s[2:3], vcc
	s_cbranch_execz .LBB5_7
.LBB5_14:
	s_add_u32 s10, s8, s4
	s_addc_u32 s11, s9, s5
	s_waitcnt vmcnt(0)
	global_store_dwordx2 v1, v[2:3], s[10:11]
	s_or_b64 exec, exec, s[2:3]
	s_and_saveexec_b64 s[2:3], s[0:1]
	s_cbranch_execnz .LBB5_8
	s_branch .LBB5_9
	.section	.rodata,"a",@progbits
	.p2align	6, 0x0
	.amdhsa_kernel _ZN7rocprim17ROCPRIM_304000_NS6detail16transform_kernelINS1_24wrapped_transform_configINS0_14default_configElEElPlS6_NS0_8identityIlEEEEvT1_mT2_T3_
		.amdhsa_group_segment_fixed_size 0
		.amdhsa_private_segment_fixed_size 0
		.amdhsa_kernarg_size 288
		.amdhsa_user_sgpr_count 6
		.amdhsa_user_sgpr_private_segment_buffer 1
		.amdhsa_user_sgpr_dispatch_ptr 0
		.amdhsa_user_sgpr_queue_ptr 0
		.amdhsa_user_sgpr_kernarg_segment_ptr 1
		.amdhsa_user_sgpr_dispatch_id 0
		.amdhsa_user_sgpr_flat_scratch_init 0
		.amdhsa_user_sgpr_kernarg_preload_length 0
		.amdhsa_user_sgpr_kernarg_preload_offset 0
		.amdhsa_user_sgpr_private_segment_size 0
		.amdhsa_uses_dynamic_stack 0
		.amdhsa_system_sgpr_private_segment_wavefront_offset 0
		.amdhsa_system_sgpr_workgroup_id_x 1
		.amdhsa_system_sgpr_workgroup_id_y 0
		.amdhsa_system_sgpr_workgroup_id_z 0
		.amdhsa_system_sgpr_workgroup_info 0
		.amdhsa_system_vgpr_workitem_id 0
		.amdhsa_next_free_vgpr 8
		.amdhsa_next_free_sgpr 12
		.amdhsa_accum_offset 8
		.amdhsa_reserve_vcc 1
		.amdhsa_reserve_flat_scratch 0
		.amdhsa_float_round_mode_32 0
		.amdhsa_float_round_mode_16_64 0
		.amdhsa_float_denorm_mode_32 3
		.amdhsa_float_denorm_mode_16_64 3
		.amdhsa_dx10_clamp 1
		.amdhsa_ieee_mode 1
		.amdhsa_fp16_overflow 0
		.amdhsa_tg_split 0
		.amdhsa_exception_fp_ieee_invalid_op 0
		.amdhsa_exception_fp_denorm_src 0
		.amdhsa_exception_fp_ieee_div_zero 0
		.amdhsa_exception_fp_ieee_overflow 0
		.amdhsa_exception_fp_ieee_underflow 0
		.amdhsa_exception_fp_ieee_inexact 0
		.amdhsa_exception_int_div_zero 0
	.end_amdhsa_kernel
	.section	.text._ZN7rocprim17ROCPRIM_304000_NS6detail16transform_kernelINS1_24wrapped_transform_configINS0_14default_configElEElPlS6_NS0_8identityIlEEEEvT1_mT2_T3_,"axG",@progbits,_ZN7rocprim17ROCPRIM_304000_NS6detail16transform_kernelINS1_24wrapped_transform_configINS0_14default_configElEElPlS6_NS0_8identityIlEEEEvT1_mT2_T3_,comdat
.Lfunc_end5:
	.size	_ZN7rocprim17ROCPRIM_304000_NS6detail16transform_kernelINS1_24wrapped_transform_configINS0_14default_configElEElPlS6_NS0_8identityIlEEEEvT1_mT2_T3_, .Lfunc_end5-_ZN7rocprim17ROCPRIM_304000_NS6detail16transform_kernelINS1_24wrapped_transform_configINS0_14default_configElEElPlS6_NS0_8identityIlEEEEvT1_mT2_T3_
                                        ; -- End function
	.section	.AMDGPU.csdata,"",@progbits
; Kernel info:
; codeLenInByte = 300
; NumSgprs: 16
; NumVgprs: 8
; NumAgprs: 0
; TotalNumVgprs: 8
; ScratchSize: 0
; MemoryBound: 1
; FloatMode: 240
; IeeeMode: 1
; LDSByteSize: 0 bytes/workgroup (compile time only)
; SGPRBlocks: 1
; VGPRBlocks: 0
; NumSGPRsForWavesPerEU: 16
; NumVGPRsForWavesPerEU: 8
; AccumOffset: 8
; Occupancy: 8
; WaveLimiterHint : 1
; COMPUTE_PGM_RSRC2:SCRATCH_EN: 0
; COMPUTE_PGM_RSRC2:USER_SGPR: 6
; COMPUTE_PGM_RSRC2:TRAP_HANDLER: 0
; COMPUTE_PGM_RSRC2:TGID_X_EN: 1
; COMPUTE_PGM_RSRC2:TGID_Y_EN: 0
; COMPUTE_PGM_RSRC2:TGID_Z_EN: 0
; COMPUTE_PGM_RSRC2:TIDIG_COMP_CNT: 0
; COMPUTE_PGM_RSRC3_GFX90A:ACCUM_OFFSET: 1
; COMPUTE_PGM_RSRC3_GFX90A:TG_SPLIT: 0
	.section	.text._ZN7rocprim17ROCPRIM_304000_NS6detail16transform_kernelINS1_24wrapped_transform_configINS0_14default_configEN2at4cuda3cub6detail10OpaqueTypeILi1EEEEESA_PSA_SC_NS0_8identityISA_EEEEvT1_mT2_T3_,"axG",@progbits,_ZN7rocprim17ROCPRIM_304000_NS6detail16transform_kernelINS1_24wrapped_transform_configINS0_14default_configEN2at4cuda3cub6detail10OpaqueTypeILi1EEEEESA_PSA_SC_NS0_8identityISA_EEEEvT1_mT2_T3_,comdat
	.protected	_ZN7rocprim17ROCPRIM_304000_NS6detail16transform_kernelINS1_24wrapped_transform_configINS0_14default_configEN2at4cuda3cub6detail10OpaqueTypeILi1EEEEESA_PSA_SC_NS0_8identityISA_EEEEvT1_mT2_T3_ ; -- Begin function _ZN7rocprim17ROCPRIM_304000_NS6detail16transform_kernelINS1_24wrapped_transform_configINS0_14default_configEN2at4cuda3cub6detail10OpaqueTypeILi1EEEEESA_PSA_SC_NS0_8identityISA_EEEEvT1_mT2_T3_
	.globl	_ZN7rocprim17ROCPRIM_304000_NS6detail16transform_kernelINS1_24wrapped_transform_configINS0_14default_configEN2at4cuda3cub6detail10OpaqueTypeILi1EEEEESA_PSA_SC_NS0_8identityISA_EEEEvT1_mT2_T3_
	.p2align	8
	.type	_ZN7rocprim17ROCPRIM_304000_NS6detail16transform_kernelINS1_24wrapped_transform_configINS0_14default_configEN2at4cuda3cub6detail10OpaqueTypeILi1EEEEESA_PSA_SC_NS0_8identityISA_EEEEvT1_mT2_T3_,@function
_ZN7rocprim17ROCPRIM_304000_NS6detail16transform_kernelINS1_24wrapped_transform_configINS0_14default_configEN2at4cuda3cub6detail10OpaqueTypeILi1EEEEESA_PSA_SC_NS0_8identityISA_EEEEvT1_mT2_T3_: ; @_ZN7rocprim17ROCPRIM_304000_NS6detail16transform_kernelINS1_24wrapped_transform_configINS0_14default_configEN2at4cuda3cub6detail10OpaqueTypeILi1EEEEESA_PSA_SC_NS0_8identityISA_EEEEvT1_mT2_T3_
; %bb.0:
	s_load_dword s7, s[4:5], 0x20
	s_load_dwordx4 s[0:3], s[4:5], 0x0
	s_load_dwordx2 s[30:31], s[4:5], 0x10
	s_lshl_b32 s33, s6, 10
	s_waitcnt lgkmcnt(0)
	s_add_i32 s7, s7, -1
	s_add_u32 s0, s0, s33
	s_addc_u32 s1, s1, 0
	v_mov_b32_e32 v1, s1
	v_add_co_u32_e32 v2, vcc, s0, v0
	s_cmp_lg_u32 s6, s7
	v_addc_co_u32_e32 v3, vcc, 0, v1, vcc
	s_cbranch_scc0 .LBB6_2
; %bb.1:
	global_load_ubyte v1, v[2:3], off
	global_load_ubyte v5, v[2:3], off offset:64
	global_load_ubyte v8, v[2:3], off offset:128
	;; [unrolled: 1-line block ×15, first 2 shown]
	s_add_u32 s3, s30, s33
	s_addc_u32 s4, s31, 0
	v_mov_b32_e32 v7, s4
	v_add_co_u32_e32 v6, vcc, s3, v0
	v_addc_co_u32_e32 v7, vcc, 0, v7, vcc
	s_mov_b64 s[34:35], -1
	s_waitcnt vmcnt(15)
	global_store_byte v[6:7], v1, off
	s_waitcnt vmcnt(15)
	global_store_byte v[6:7], v5, off offset:64
	s_waitcnt vmcnt(15)
	global_store_byte v[6:7], v8, off offset:128
	;; [unrolled: 2-line block ×14, first 2 shown]
	s_cbranch_execz .LBB6_3
	s_branch .LBB6_52
.LBB6_2:
	s_mov_b64 s[34:35], 0
                                        ; implicit-def: $vgpr4
.LBB6_3:
	s_sub_i32 s34, s2, s33
	v_cmp_gt_u32_e32 vcc, s34, v0
                                        ; implicit-def: $vgpr1
	s_and_saveexec_b64 s[0:1], vcc
	s_cbranch_execz .LBB6_5
; %bb.4:
	global_load_ubyte v1, v[2:3], off
.LBB6_5:
	s_or_b64 exec, exec, s[0:1]
	s_waitcnt vmcnt(15)
	v_or_b32_e32 v4, 64, v0
	v_cmp_gt_u32_e64 s[0:1], s34, v4
                                        ; implicit-def: $vgpr5
	s_and_saveexec_b64 s[2:3], s[0:1]
	s_cbranch_execz .LBB6_7
; %bb.6:
	global_load_ubyte v5, v[2:3], off offset:64
.LBB6_7:
	s_or_b64 exec, exec, s[2:3]
	v_or_b32_e32 v4, 0x80, v0
	v_cmp_gt_u32_e64 s[2:3], s34, v4
                                        ; implicit-def: $vgpr6
	s_and_saveexec_b64 s[4:5], s[2:3]
	s_cbranch_execz .LBB6_9
; %bb.8:
	global_load_ubyte v6, v[2:3], off offset:128
.LBB6_9:
	s_or_b64 exec, exec, s[4:5]
	v_or_b32_e32 v4, 0xc0, v0
	v_cmp_gt_u32_e64 s[4:5], s34, v4
                                        ; implicit-def: $vgpr7
	s_and_saveexec_b64 s[6:7], s[4:5]
	s_cbranch_execz .LBB6_11
; %bb.10:
	global_load_ubyte v7, v[2:3], off offset:192
.LBB6_11:
	s_or_b64 exec, exec, s[6:7]
	v_or_b32_e32 v4, 0x100, v0
	v_cmp_gt_u32_e64 s[6:7], s34, v4
                                        ; implicit-def: $vgpr8
	s_and_saveexec_b64 s[8:9], s[6:7]
	s_cbranch_execz .LBB6_13
; %bb.12:
	global_load_ubyte v8, v[2:3], off offset:256
.LBB6_13:
	s_or_b64 exec, exec, s[8:9]
	v_or_b32_e32 v4, 0x140, v0
	v_cmp_gt_u32_e64 s[8:9], s34, v4
                                        ; implicit-def: $vgpr9
	s_and_saveexec_b64 s[10:11], s[8:9]
	s_cbranch_execz .LBB6_15
; %bb.14:
	global_load_ubyte v9, v[2:3], off offset:320
.LBB6_15:
	s_or_b64 exec, exec, s[10:11]
	v_or_b32_e32 v4, 0x180, v0
	v_cmp_gt_u32_e64 s[10:11], s34, v4
                                        ; implicit-def: $vgpr10
	s_and_saveexec_b64 s[12:13], s[10:11]
	s_cbranch_execz .LBB6_17
; %bb.16:
	global_load_ubyte v10, v[2:3], off offset:384
.LBB6_17:
	s_or_b64 exec, exec, s[12:13]
	v_or_b32_e32 v4, 0x1c0, v0
	v_cmp_gt_u32_e64 s[12:13], s34, v4
                                        ; implicit-def: $vgpr11
	s_and_saveexec_b64 s[14:15], s[12:13]
	s_cbranch_execz .LBB6_19
; %bb.18:
	global_load_ubyte v11, v[2:3], off offset:448
.LBB6_19:
	s_or_b64 exec, exec, s[14:15]
	v_or_b32_e32 v4, 0x200, v0
	v_cmp_gt_u32_e64 s[14:15], s34, v4
                                        ; implicit-def: $vgpr12
	s_and_saveexec_b64 s[16:17], s[14:15]
	s_cbranch_execz .LBB6_21
; %bb.20:
	global_load_ubyte v12, v[2:3], off offset:512
.LBB6_21:
	s_or_b64 exec, exec, s[16:17]
	v_or_b32_e32 v4, 0x240, v0
	v_cmp_gt_u32_e64 s[16:17], s34, v4
                                        ; implicit-def: $vgpr13
	s_and_saveexec_b64 s[18:19], s[16:17]
	s_cbranch_execz .LBB6_23
; %bb.22:
	global_load_ubyte v13, v[2:3], off offset:576
.LBB6_23:
	s_or_b64 exec, exec, s[18:19]
	v_or_b32_e32 v4, 0x280, v0
	v_cmp_gt_u32_e64 s[18:19], s34, v4
                                        ; implicit-def: $vgpr14
	s_and_saveexec_b64 s[20:21], s[18:19]
	s_cbranch_execz .LBB6_25
; %bb.24:
	global_load_ubyte v14, v[2:3], off offset:640
.LBB6_25:
	s_or_b64 exec, exec, s[20:21]
	v_or_b32_e32 v4, 0x2c0, v0
	v_cmp_gt_u32_e64 s[20:21], s34, v4
                                        ; implicit-def: $vgpr15
	s_and_saveexec_b64 s[22:23], s[20:21]
	s_cbranch_execz .LBB6_27
; %bb.26:
	global_load_ubyte v15, v[2:3], off offset:704
.LBB6_27:
	s_or_b64 exec, exec, s[22:23]
	v_or_b32_e32 v4, 0x300, v0
	v_cmp_gt_u32_e64 s[22:23], s34, v4
                                        ; implicit-def: $vgpr16
	s_and_saveexec_b64 s[24:25], s[22:23]
	s_cbranch_execz .LBB6_29
; %bb.28:
	global_load_ubyte v16, v[2:3], off offset:768
.LBB6_29:
	s_or_b64 exec, exec, s[24:25]
	v_or_b32_e32 v4, 0x340, v0
	v_cmp_gt_u32_e64 s[24:25], s34, v4
                                        ; implicit-def: $vgpr17
	s_and_saveexec_b64 s[26:27], s[24:25]
	s_cbranch_execz .LBB6_31
; %bb.30:
	global_load_ubyte v17, v[2:3], off offset:832
.LBB6_31:
	s_or_b64 exec, exec, s[26:27]
	v_or_b32_e32 v4, 0x380, v0
	v_cmp_gt_u32_e64 s[26:27], s34, v4
                                        ; implicit-def: $vgpr18
	s_and_saveexec_b64 s[28:29], s[26:27]
	s_cbranch_execz .LBB6_33
; %bb.32:
	global_load_ubyte v18, v[2:3], off offset:896
.LBB6_33:
	s_or_b64 exec, exec, s[28:29]
	v_or_b32_e32 v4, 0x3c0, v0
	v_cmp_gt_u32_e64 s[34:35], s34, v4
                                        ; implicit-def: $vgpr4
	s_and_saveexec_b64 s[28:29], s[34:35]
	s_cbranch_execz .LBB6_35
; %bb.34:
	global_load_ubyte v4, v[2:3], off offset:960
.LBB6_35:
	s_or_b64 exec, exec, s[28:29]
	s_add_u32 s28, s30, s33
	s_addc_u32 s29, s31, 0
	v_mov_b32_e32 v3, s29
	v_add_co_u32_e64 v2, s[28:29], s28, v0
	v_addc_co_u32_e64 v3, s[28:29], 0, v3, s[28:29]
	s_and_saveexec_b64 s[28:29], vcc
	s_xor_b64 s[28:29], exec, s[28:29]
	s_cbranch_execnz .LBB6_55
; %bb.36:
	s_or_b64 exec, exec, s[28:29]
	s_and_saveexec_b64 s[28:29], s[0:1]
	s_cbranch_execnz .LBB6_56
.LBB6_37:
	s_or_b64 exec, exec, s[28:29]
	s_and_saveexec_b64 s[0:1], s[2:3]
	s_cbranch_execnz .LBB6_57
.LBB6_38:
	s_or_b64 exec, exec, s[0:1]
	s_and_saveexec_b64 s[0:1], s[4:5]
	s_cbranch_execnz .LBB6_58
.LBB6_39:
	s_or_b64 exec, exec, s[0:1]
	s_and_saveexec_b64 s[0:1], s[6:7]
	s_cbranch_execnz .LBB6_59
.LBB6_40:
	s_or_b64 exec, exec, s[0:1]
	s_and_saveexec_b64 s[0:1], s[8:9]
	s_cbranch_execnz .LBB6_60
.LBB6_41:
	s_or_b64 exec, exec, s[0:1]
	s_and_saveexec_b64 s[0:1], s[10:11]
	s_cbranch_execnz .LBB6_61
.LBB6_42:
	s_or_b64 exec, exec, s[0:1]
	s_and_saveexec_b64 s[0:1], s[12:13]
	s_cbranch_execnz .LBB6_62
.LBB6_43:
	s_or_b64 exec, exec, s[0:1]
	s_and_saveexec_b64 s[0:1], s[14:15]
	s_cbranch_execnz .LBB6_63
.LBB6_44:
	s_or_b64 exec, exec, s[0:1]
	s_and_saveexec_b64 s[0:1], s[16:17]
	s_cbranch_execnz .LBB6_64
.LBB6_45:
	s_or_b64 exec, exec, s[0:1]
	s_and_saveexec_b64 s[0:1], s[18:19]
	s_cbranch_execnz .LBB6_65
.LBB6_46:
	s_or_b64 exec, exec, s[0:1]
	s_and_saveexec_b64 s[0:1], s[20:21]
	s_cbranch_execnz .LBB6_66
.LBB6_47:
	s_or_b64 exec, exec, s[0:1]
	s_and_saveexec_b64 s[0:1], s[22:23]
	s_cbranch_execnz .LBB6_67
.LBB6_48:
	s_or_b64 exec, exec, s[0:1]
	s_and_saveexec_b64 s[0:1], s[24:25]
	s_cbranch_execnz .LBB6_68
.LBB6_49:
	s_or_b64 exec, exec, s[0:1]
	s_and_saveexec_b64 s[0:1], s[26:27]
	s_cbranch_execz .LBB6_51
.LBB6_50:
	s_waitcnt vmcnt(0)
	global_store_byte v[2:3], v18, off offset:896
.LBB6_51:
	s_or_b64 exec, exec, s[0:1]
.LBB6_52:
	s_and_saveexec_b64 s[0:1], s[34:35]
	s_cbranch_execnz .LBB6_54
; %bb.53:
	s_endpgm
.LBB6_54:
	s_add_u32 s0, s30, s33
	s_addc_u32 s1, s31, 0
	s_waitcnt vmcnt(0)
	v_mov_b32_e32 v1, s1
	v_add_co_u32_e32 v0, vcc, s0, v0
	v_addc_co_u32_e32 v1, vcc, 0, v1, vcc
	global_store_byte v[0:1], v4, off offset:960
	s_endpgm
.LBB6_55:
	s_waitcnt vmcnt(0)
	global_store_byte v[2:3], v1, off
	s_or_b64 exec, exec, s[28:29]
	s_and_saveexec_b64 s[28:29], s[0:1]
	s_cbranch_execz .LBB6_37
.LBB6_56:
	s_waitcnt vmcnt(0)
	global_store_byte v[2:3], v5, off offset:64
	s_or_b64 exec, exec, s[28:29]
	s_and_saveexec_b64 s[0:1], s[2:3]
	s_cbranch_execz .LBB6_38
.LBB6_57:
	s_waitcnt vmcnt(0)
	global_store_byte v[2:3], v6, off offset:128
	s_or_b64 exec, exec, s[0:1]
	s_and_saveexec_b64 s[0:1], s[4:5]
	s_cbranch_execz .LBB6_39
.LBB6_58:
	s_waitcnt vmcnt(0)
	global_store_byte v[2:3], v7, off offset:192
	s_or_b64 exec, exec, s[0:1]
	s_and_saveexec_b64 s[0:1], s[6:7]
	s_cbranch_execz .LBB6_40
.LBB6_59:
	s_waitcnt vmcnt(0)
	global_store_byte v[2:3], v8, off offset:256
	s_or_b64 exec, exec, s[0:1]
	s_and_saveexec_b64 s[0:1], s[8:9]
	s_cbranch_execz .LBB6_41
.LBB6_60:
	s_waitcnt vmcnt(0)
	global_store_byte v[2:3], v9, off offset:320
	s_or_b64 exec, exec, s[0:1]
	s_and_saveexec_b64 s[0:1], s[10:11]
	s_cbranch_execz .LBB6_42
.LBB6_61:
	s_waitcnt vmcnt(0)
	global_store_byte v[2:3], v10, off offset:384
	s_or_b64 exec, exec, s[0:1]
	s_and_saveexec_b64 s[0:1], s[12:13]
	s_cbranch_execz .LBB6_43
.LBB6_62:
	s_waitcnt vmcnt(0)
	global_store_byte v[2:3], v11, off offset:448
	s_or_b64 exec, exec, s[0:1]
	s_and_saveexec_b64 s[0:1], s[14:15]
	s_cbranch_execz .LBB6_44
.LBB6_63:
	s_waitcnt vmcnt(0)
	global_store_byte v[2:3], v12, off offset:512
	s_or_b64 exec, exec, s[0:1]
	s_and_saveexec_b64 s[0:1], s[16:17]
	s_cbranch_execz .LBB6_45
.LBB6_64:
	s_waitcnt vmcnt(0)
	global_store_byte v[2:3], v13, off offset:576
	s_or_b64 exec, exec, s[0:1]
	s_and_saveexec_b64 s[0:1], s[18:19]
	s_cbranch_execz .LBB6_46
.LBB6_65:
	s_waitcnt vmcnt(0)
	global_store_byte v[2:3], v14, off offset:640
	s_or_b64 exec, exec, s[0:1]
	s_and_saveexec_b64 s[0:1], s[20:21]
	s_cbranch_execz .LBB6_47
.LBB6_66:
	s_waitcnt vmcnt(0)
	global_store_byte v[2:3], v15, off offset:704
	s_or_b64 exec, exec, s[0:1]
	s_and_saveexec_b64 s[0:1], s[22:23]
	s_cbranch_execz .LBB6_48
.LBB6_67:
	s_waitcnt vmcnt(0)
	global_store_byte v[2:3], v16, off offset:768
	s_or_b64 exec, exec, s[0:1]
	s_and_saveexec_b64 s[0:1], s[24:25]
	s_cbranch_execz .LBB6_49
.LBB6_68:
	s_waitcnt vmcnt(0)
	global_store_byte v[2:3], v17, off offset:832
	s_or_b64 exec, exec, s[0:1]
	s_and_saveexec_b64 s[0:1], s[26:27]
	s_cbranch_execnz .LBB6_50
	s_branch .LBB6_51
	.section	.rodata,"a",@progbits
	.p2align	6, 0x0
	.amdhsa_kernel _ZN7rocprim17ROCPRIM_304000_NS6detail16transform_kernelINS1_24wrapped_transform_configINS0_14default_configEN2at4cuda3cub6detail10OpaqueTypeILi1EEEEESA_PSA_SC_NS0_8identityISA_EEEEvT1_mT2_T3_
		.amdhsa_group_segment_fixed_size 0
		.amdhsa_private_segment_fixed_size 0
		.amdhsa_kernarg_size 288
		.amdhsa_user_sgpr_count 6
		.amdhsa_user_sgpr_private_segment_buffer 1
		.amdhsa_user_sgpr_dispatch_ptr 0
		.amdhsa_user_sgpr_queue_ptr 0
		.amdhsa_user_sgpr_kernarg_segment_ptr 1
		.amdhsa_user_sgpr_dispatch_id 0
		.amdhsa_user_sgpr_flat_scratch_init 0
		.amdhsa_user_sgpr_kernarg_preload_length 0
		.amdhsa_user_sgpr_kernarg_preload_offset 0
		.amdhsa_user_sgpr_private_segment_size 0
		.amdhsa_uses_dynamic_stack 0
		.amdhsa_system_sgpr_private_segment_wavefront_offset 0
		.amdhsa_system_sgpr_workgroup_id_x 1
		.amdhsa_system_sgpr_workgroup_id_y 0
		.amdhsa_system_sgpr_workgroup_id_z 0
		.amdhsa_system_sgpr_workgroup_info 0
		.amdhsa_system_vgpr_workitem_id 0
		.amdhsa_next_free_vgpr 21
		.amdhsa_next_free_sgpr 36
		.amdhsa_accum_offset 24
		.amdhsa_reserve_vcc 1
		.amdhsa_reserve_flat_scratch 0
		.amdhsa_float_round_mode_32 0
		.amdhsa_float_round_mode_16_64 0
		.amdhsa_float_denorm_mode_32 3
		.amdhsa_float_denorm_mode_16_64 3
		.amdhsa_dx10_clamp 1
		.amdhsa_ieee_mode 1
		.amdhsa_fp16_overflow 0
		.amdhsa_tg_split 0
		.amdhsa_exception_fp_ieee_invalid_op 0
		.amdhsa_exception_fp_denorm_src 0
		.amdhsa_exception_fp_ieee_div_zero 0
		.amdhsa_exception_fp_ieee_overflow 0
		.amdhsa_exception_fp_ieee_underflow 0
		.amdhsa_exception_fp_ieee_inexact 0
		.amdhsa_exception_int_div_zero 0
	.end_amdhsa_kernel
	.section	.text._ZN7rocprim17ROCPRIM_304000_NS6detail16transform_kernelINS1_24wrapped_transform_configINS0_14default_configEN2at4cuda3cub6detail10OpaqueTypeILi1EEEEESA_PSA_SC_NS0_8identityISA_EEEEvT1_mT2_T3_,"axG",@progbits,_ZN7rocprim17ROCPRIM_304000_NS6detail16transform_kernelINS1_24wrapped_transform_configINS0_14default_configEN2at4cuda3cub6detail10OpaqueTypeILi1EEEEESA_PSA_SC_NS0_8identityISA_EEEEvT1_mT2_T3_,comdat
.Lfunc_end6:
	.size	_ZN7rocprim17ROCPRIM_304000_NS6detail16transform_kernelINS1_24wrapped_transform_configINS0_14default_configEN2at4cuda3cub6detail10OpaqueTypeILi1EEEEESA_PSA_SC_NS0_8identityISA_EEEEvT1_mT2_T3_, .Lfunc_end6-_ZN7rocprim17ROCPRIM_304000_NS6detail16transform_kernelINS1_24wrapped_transform_configINS0_14default_configEN2at4cuda3cub6detail10OpaqueTypeILi1EEEEESA_PSA_SC_NS0_8identityISA_EEEEvT1_mT2_T3_
                                        ; -- End function
	.section	.AMDGPU.csdata,"",@progbits
; Kernel info:
; codeLenInByte = 1588
; NumSgprs: 40
; NumVgprs: 21
; NumAgprs: 0
; TotalNumVgprs: 21
; ScratchSize: 0
; MemoryBound: 0
; FloatMode: 240
; IeeeMode: 1
; LDSByteSize: 0 bytes/workgroup (compile time only)
; SGPRBlocks: 4
; VGPRBlocks: 2
; NumSGPRsForWavesPerEU: 40
; NumVGPRsForWavesPerEU: 21
; AccumOffset: 24
; Occupancy: 8
; WaveLimiterHint : 0
; COMPUTE_PGM_RSRC2:SCRATCH_EN: 0
; COMPUTE_PGM_RSRC2:USER_SGPR: 6
; COMPUTE_PGM_RSRC2:TRAP_HANDLER: 0
; COMPUTE_PGM_RSRC2:TGID_X_EN: 1
; COMPUTE_PGM_RSRC2:TGID_Y_EN: 0
; COMPUTE_PGM_RSRC2:TGID_Z_EN: 0
; COMPUTE_PGM_RSRC2:TIDIG_COMP_CNT: 0
; COMPUTE_PGM_RSRC3_GFX90A:ACCUM_OFFSET: 5
; COMPUTE_PGM_RSRC3_GFX90A:TG_SPLIT: 0
	.section	.text._ZN7rocprim17ROCPRIM_304000_NS6detail45device_block_merge_mergepath_partition_kernelINS1_37wrapped_merge_sort_block_merge_configINS0_14default_configElN2at4cuda3cub6detail10OpaqueTypeILi1EEEEEPljNS1_19radix_merge_compareILb1ELb1ElNS0_19identity_decomposerEEEEEvT0_T1_jPSH_T2_SH_,"axG",@progbits,_ZN7rocprim17ROCPRIM_304000_NS6detail45device_block_merge_mergepath_partition_kernelINS1_37wrapped_merge_sort_block_merge_configINS0_14default_configElN2at4cuda3cub6detail10OpaqueTypeILi1EEEEEPljNS1_19radix_merge_compareILb1ELb1ElNS0_19identity_decomposerEEEEEvT0_T1_jPSH_T2_SH_,comdat
	.protected	_ZN7rocprim17ROCPRIM_304000_NS6detail45device_block_merge_mergepath_partition_kernelINS1_37wrapped_merge_sort_block_merge_configINS0_14default_configElN2at4cuda3cub6detail10OpaqueTypeILi1EEEEEPljNS1_19radix_merge_compareILb1ELb1ElNS0_19identity_decomposerEEEEEvT0_T1_jPSH_T2_SH_ ; -- Begin function _ZN7rocprim17ROCPRIM_304000_NS6detail45device_block_merge_mergepath_partition_kernelINS1_37wrapped_merge_sort_block_merge_configINS0_14default_configElN2at4cuda3cub6detail10OpaqueTypeILi1EEEEEPljNS1_19radix_merge_compareILb1ELb1ElNS0_19identity_decomposerEEEEEvT0_T1_jPSH_T2_SH_
	.globl	_ZN7rocprim17ROCPRIM_304000_NS6detail45device_block_merge_mergepath_partition_kernelINS1_37wrapped_merge_sort_block_merge_configINS0_14default_configElN2at4cuda3cub6detail10OpaqueTypeILi1EEEEEPljNS1_19radix_merge_compareILb1ELb1ElNS0_19identity_decomposerEEEEEvT0_T1_jPSH_T2_SH_
	.p2align	8
	.type	_ZN7rocprim17ROCPRIM_304000_NS6detail45device_block_merge_mergepath_partition_kernelINS1_37wrapped_merge_sort_block_merge_configINS0_14default_configElN2at4cuda3cub6detail10OpaqueTypeILi1EEEEEPljNS1_19radix_merge_compareILb1ELb1ElNS0_19identity_decomposerEEEEEvT0_T1_jPSH_T2_SH_,@function
_ZN7rocprim17ROCPRIM_304000_NS6detail45device_block_merge_mergepath_partition_kernelINS1_37wrapped_merge_sort_block_merge_configINS0_14default_configElN2at4cuda3cub6detail10OpaqueTypeILi1EEEEEPljNS1_19radix_merge_compareILb1ELb1ElNS0_19identity_decomposerEEEEEvT0_T1_jPSH_T2_SH_: ; @_ZN7rocprim17ROCPRIM_304000_NS6detail45device_block_merge_mergepath_partition_kernelINS1_37wrapped_merge_sort_block_merge_configINS0_14default_configElN2at4cuda3cub6detail10OpaqueTypeILi1EEEEEPljNS1_19radix_merge_compareILb1ELb1ElNS0_19identity_decomposerEEEEEvT0_T1_jPSH_T2_SH_
; %bb.0:
	s_load_dwordx2 s[8:9], s[4:5], 0x8
	v_lshl_or_b32 v0, s6, 7, v0
	s_waitcnt lgkmcnt(0)
	v_cmp_gt_u32_e32 vcc, s9, v0
	s_and_saveexec_b64 s[0:1], vcc
	s_cbranch_execz .LBB7_6
; %bb.1:
	s_load_dword s6, s[4:5], 0x20
	s_load_dwordx4 s[0:3], s[4:5], 0x10
	s_waitcnt lgkmcnt(0)
	s_lshr_b32 s7, s6, 9
	s_and_b32 s7, s7, 0x7ffffe
	s_add_i32 s9, s7, -1
	s_sub_i32 s7, 0, s7
	v_and_b32_e32 v1, s7, v0
	v_lshlrev_b32_e32 v1, 10, v1
	v_min_u32_e32 v2, s8, v1
	v_add_u32_e32 v1, s6, v1
	v_min_u32_e32 v4, s8, v1
	v_add_u32_e32 v1, s6, v4
	v_and_b32_e32 v3, s9, v0
	v_min_u32_e32 v1, s8, v1
	v_sub_u32_e32 v5, v1, v2
	v_lshlrev_b32_e32 v3, 10, v3
	v_min_u32_e32 v6, v5, v3
	v_sub_u32_e32 v3, v4, v2
	v_sub_u32_e32 v1, v1, v4
	v_sub_u32_e64 v1, v6, v1 clamp
	v_min_u32_e32 v7, v6, v3
	v_cmp_lt_u32_e32 vcc, v1, v7
	s_and_saveexec_b64 s[6:7], vcc
	s_cbranch_execz .LBB7_5
; %bb.2:
	s_load_dwordx2 s[4:5], s[4:5], 0x0
	v_mov_b32_e32 v5, 0
	v_mov_b32_e32 v3, v5
	v_lshlrev_b64 v[8:9], 3, v[2:3]
	v_lshlrev_b64 v[10:11], 3, v[4:5]
	s_waitcnt lgkmcnt(0)
	v_mov_b32_e32 v12, s5
	v_add_co_u32_e32 v3, vcc, s4, v8
	v_addc_co_u32_e32 v8, vcc, v12, v9, vcc
	v_add_co_u32_e32 v9, vcc, s4, v10
	v_addc_co_u32_e32 v10, vcc, v12, v11, vcc
	s_mov_b64 s[4:5], 0
.LBB7_3:                                ; =>This Inner Loop Header: Depth=1
	v_add_u32_e32 v4, v7, v1
	v_lshrrev_b32_e32 v4, 1, v4
	v_lshlrev_b64 v[14:15], 3, v[4:5]
	v_mov_b32_e32 v13, v5
	v_xad_u32 v12, v4, -1, v6
	v_add_co_u32_e32 v14, vcc, v3, v14
	v_addc_co_u32_e32 v15, vcc, v8, v15, vcc
	v_lshlrev_b64 v[12:13], 3, v[12:13]
	v_add_co_u32_e32 v12, vcc, v9, v12
	v_addc_co_u32_e32 v13, vcc, v10, v13, vcc
	global_load_dwordx2 v[14:15], v[14:15], off
	v_add_u32_e32 v11, 1, v4
	global_load_dwordx2 v[12:13], v[12:13], off
	s_waitcnt vmcnt(1)
	v_and_b32_e32 v15, s3, v15
	v_and_b32_e32 v14, s2, v14
	s_waitcnt vmcnt(0)
	v_and_b32_e32 v13, s3, v13
	v_and_b32_e32 v12, s2, v12
	v_cmp_gt_i64_e32 vcc, v[12:13], v[14:15]
	v_cndmask_b32_e32 v7, v7, v4, vcc
	v_cndmask_b32_e32 v1, v11, v1, vcc
	v_cmp_ge_u32_e32 vcc, v1, v7
	s_or_b64 s[4:5], vcc, s[4:5]
	s_andn2_b64 exec, exec, s[4:5]
	s_cbranch_execnz .LBB7_3
; %bb.4:
	s_or_b64 exec, exec, s[4:5]
.LBB7_5:
	s_or_b64 exec, exec, s[6:7]
	v_add_u32_e32 v2, v1, v2
	v_mov_b32_e32 v1, 0
	v_lshlrev_b64 v[0:1], 2, v[0:1]
	v_mov_b32_e32 v3, s1
	v_add_co_u32_e32 v0, vcc, s0, v0
	v_addc_co_u32_e32 v1, vcc, v3, v1, vcc
	global_store_dword v[0:1], v2, off
.LBB7_6:
	s_endpgm
	.section	.rodata,"a",@progbits
	.p2align	6, 0x0
	.amdhsa_kernel _ZN7rocprim17ROCPRIM_304000_NS6detail45device_block_merge_mergepath_partition_kernelINS1_37wrapped_merge_sort_block_merge_configINS0_14default_configElN2at4cuda3cub6detail10OpaqueTypeILi1EEEEEPljNS1_19radix_merge_compareILb1ELb1ElNS0_19identity_decomposerEEEEEvT0_T1_jPSH_T2_SH_
		.amdhsa_group_segment_fixed_size 0
		.amdhsa_private_segment_fixed_size 0
		.amdhsa_kernarg_size 36
		.amdhsa_user_sgpr_count 6
		.amdhsa_user_sgpr_private_segment_buffer 1
		.amdhsa_user_sgpr_dispatch_ptr 0
		.amdhsa_user_sgpr_queue_ptr 0
		.amdhsa_user_sgpr_kernarg_segment_ptr 1
		.amdhsa_user_sgpr_dispatch_id 0
		.amdhsa_user_sgpr_flat_scratch_init 0
		.amdhsa_user_sgpr_kernarg_preload_length 0
		.amdhsa_user_sgpr_kernarg_preload_offset 0
		.amdhsa_user_sgpr_private_segment_size 0
		.amdhsa_uses_dynamic_stack 0
		.amdhsa_system_sgpr_private_segment_wavefront_offset 0
		.amdhsa_system_sgpr_workgroup_id_x 1
		.amdhsa_system_sgpr_workgroup_id_y 0
		.amdhsa_system_sgpr_workgroup_id_z 0
		.amdhsa_system_sgpr_workgroup_info 0
		.amdhsa_system_vgpr_workitem_id 0
		.amdhsa_next_free_vgpr 16
		.amdhsa_next_free_sgpr 10
		.amdhsa_accum_offset 16
		.amdhsa_reserve_vcc 1
		.amdhsa_reserve_flat_scratch 0
		.amdhsa_float_round_mode_32 0
		.amdhsa_float_round_mode_16_64 0
		.amdhsa_float_denorm_mode_32 3
		.amdhsa_float_denorm_mode_16_64 3
		.amdhsa_dx10_clamp 1
		.amdhsa_ieee_mode 1
		.amdhsa_fp16_overflow 0
		.amdhsa_tg_split 0
		.amdhsa_exception_fp_ieee_invalid_op 0
		.amdhsa_exception_fp_denorm_src 0
		.amdhsa_exception_fp_ieee_div_zero 0
		.amdhsa_exception_fp_ieee_overflow 0
		.amdhsa_exception_fp_ieee_underflow 0
		.amdhsa_exception_fp_ieee_inexact 0
		.amdhsa_exception_int_div_zero 0
	.end_amdhsa_kernel
	.section	.text._ZN7rocprim17ROCPRIM_304000_NS6detail45device_block_merge_mergepath_partition_kernelINS1_37wrapped_merge_sort_block_merge_configINS0_14default_configElN2at4cuda3cub6detail10OpaqueTypeILi1EEEEEPljNS1_19radix_merge_compareILb1ELb1ElNS0_19identity_decomposerEEEEEvT0_T1_jPSH_T2_SH_,"axG",@progbits,_ZN7rocprim17ROCPRIM_304000_NS6detail45device_block_merge_mergepath_partition_kernelINS1_37wrapped_merge_sort_block_merge_configINS0_14default_configElN2at4cuda3cub6detail10OpaqueTypeILi1EEEEEPljNS1_19radix_merge_compareILb1ELb1ElNS0_19identity_decomposerEEEEEvT0_T1_jPSH_T2_SH_,comdat
.Lfunc_end7:
	.size	_ZN7rocprim17ROCPRIM_304000_NS6detail45device_block_merge_mergepath_partition_kernelINS1_37wrapped_merge_sort_block_merge_configINS0_14default_configElN2at4cuda3cub6detail10OpaqueTypeILi1EEEEEPljNS1_19radix_merge_compareILb1ELb1ElNS0_19identity_decomposerEEEEEvT0_T1_jPSH_T2_SH_, .Lfunc_end7-_ZN7rocprim17ROCPRIM_304000_NS6detail45device_block_merge_mergepath_partition_kernelINS1_37wrapped_merge_sort_block_merge_configINS0_14default_configElN2at4cuda3cub6detail10OpaqueTypeILi1EEEEEPljNS1_19radix_merge_compareILb1ELb1ElNS0_19identity_decomposerEEEEEvT0_T1_jPSH_T2_SH_
                                        ; -- End function
	.section	.AMDGPU.csdata,"",@progbits
; Kernel info:
; codeLenInByte = 380
; NumSgprs: 14
; NumVgprs: 16
; NumAgprs: 0
; TotalNumVgprs: 16
; ScratchSize: 0
; MemoryBound: 0
; FloatMode: 240
; IeeeMode: 1
; LDSByteSize: 0 bytes/workgroup (compile time only)
; SGPRBlocks: 1
; VGPRBlocks: 1
; NumSGPRsForWavesPerEU: 14
; NumVGPRsForWavesPerEU: 16
; AccumOffset: 16
; Occupancy: 8
; WaveLimiterHint : 0
; COMPUTE_PGM_RSRC2:SCRATCH_EN: 0
; COMPUTE_PGM_RSRC2:USER_SGPR: 6
; COMPUTE_PGM_RSRC2:TRAP_HANDLER: 0
; COMPUTE_PGM_RSRC2:TGID_X_EN: 1
; COMPUTE_PGM_RSRC2:TGID_Y_EN: 0
; COMPUTE_PGM_RSRC2:TGID_Z_EN: 0
; COMPUTE_PGM_RSRC2:TIDIG_COMP_CNT: 0
; COMPUTE_PGM_RSRC3_GFX90A:ACCUM_OFFSET: 3
; COMPUTE_PGM_RSRC3_GFX90A:TG_SPLIT: 0
	.section	.text._ZN7rocprim17ROCPRIM_304000_NS6detail35device_block_merge_mergepath_kernelINS1_37wrapped_merge_sort_block_merge_configINS0_14default_configElN2at4cuda3cub6detail10OpaqueTypeILi1EEEEEPlSC_PSA_SD_jNS1_19radix_merge_compareILb1ELb1ElNS0_19identity_decomposerEEEEEvT0_T1_T2_T3_T4_SL_jT5_PKSL_NS1_7vsmem_tE,"axG",@progbits,_ZN7rocprim17ROCPRIM_304000_NS6detail35device_block_merge_mergepath_kernelINS1_37wrapped_merge_sort_block_merge_configINS0_14default_configElN2at4cuda3cub6detail10OpaqueTypeILi1EEEEEPlSC_PSA_SD_jNS1_19radix_merge_compareILb1ELb1ElNS0_19identity_decomposerEEEEEvT0_T1_T2_T3_T4_SL_jT5_PKSL_NS1_7vsmem_tE,comdat
	.protected	_ZN7rocprim17ROCPRIM_304000_NS6detail35device_block_merge_mergepath_kernelINS1_37wrapped_merge_sort_block_merge_configINS0_14default_configElN2at4cuda3cub6detail10OpaqueTypeILi1EEEEEPlSC_PSA_SD_jNS1_19radix_merge_compareILb1ELb1ElNS0_19identity_decomposerEEEEEvT0_T1_T2_T3_T4_SL_jT5_PKSL_NS1_7vsmem_tE ; -- Begin function _ZN7rocprim17ROCPRIM_304000_NS6detail35device_block_merge_mergepath_kernelINS1_37wrapped_merge_sort_block_merge_configINS0_14default_configElN2at4cuda3cub6detail10OpaqueTypeILi1EEEEEPlSC_PSA_SD_jNS1_19radix_merge_compareILb1ELb1ElNS0_19identity_decomposerEEEEEvT0_T1_T2_T3_T4_SL_jT5_PKSL_NS1_7vsmem_tE
	.globl	_ZN7rocprim17ROCPRIM_304000_NS6detail35device_block_merge_mergepath_kernelINS1_37wrapped_merge_sort_block_merge_configINS0_14default_configElN2at4cuda3cub6detail10OpaqueTypeILi1EEEEEPlSC_PSA_SD_jNS1_19radix_merge_compareILb1ELb1ElNS0_19identity_decomposerEEEEEvT0_T1_T2_T3_T4_SL_jT5_PKSL_NS1_7vsmem_tE
	.p2align	8
	.type	_ZN7rocprim17ROCPRIM_304000_NS6detail35device_block_merge_mergepath_kernelINS1_37wrapped_merge_sort_block_merge_configINS0_14default_configElN2at4cuda3cub6detail10OpaqueTypeILi1EEEEEPlSC_PSA_SD_jNS1_19radix_merge_compareILb1ELb1ElNS0_19identity_decomposerEEEEEvT0_T1_T2_T3_T4_SL_jT5_PKSL_NS1_7vsmem_tE,@function
_ZN7rocprim17ROCPRIM_304000_NS6detail35device_block_merge_mergepath_kernelINS1_37wrapped_merge_sort_block_merge_configINS0_14default_configElN2at4cuda3cub6detail10OpaqueTypeILi1EEEEEPlSC_PSA_SD_jNS1_19radix_merge_compareILb1ELb1ElNS0_19identity_decomposerEEEEEvT0_T1_T2_T3_T4_SL_jT5_PKSL_NS1_7vsmem_tE: ; @_ZN7rocprim17ROCPRIM_304000_NS6detail35device_block_merge_mergepath_kernelINS1_37wrapped_merge_sort_block_merge_configINS0_14default_configElN2at4cuda3cub6detail10OpaqueTypeILi1EEEEEPlSC_PSA_SD_jNS1_19radix_merge_compareILb1ELb1ElNS0_19identity_decomposerEEEEEvT0_T1_T2_T3_T4_SL_jT5_PKSL_NS1_7vsmem_tE
; %bb.0:
	s_load_dwordx2 s[28:29], s[4:5], 0x48
	s_load_dwordx4 s[16:19], s[4:5], 0x20
	s_add_u32 s2, s4, 0x48
	s_addc_u32 s3, s5, 0
	s_waitcnt lgkmcnt(0)
	s_mul_i32 s0, s29, s8
	s_add_i32 s0, s0, s7
	s_mul_i32 s0, s0, s28
	s_add_i32 s0, s0, s6
	s_cmp_ge_u32 s0, s18
	s_cbranch_scc1 .LBB8_69
; %bb.1:
	s_load_dwordx8 s[8:15], s[4:5], 0x0
	s_load_dwordx4 s[20:23], s[4:5], 0x30
	s_lshr_b32 s31, s16, 10
	s_cmp_lg_u32 s0, s31
	s_mov_b32 s1, 0
	s_cselect_b64 s[24:25], -1, 0
	s_lshl_b64 s[4:5], s[0:1], 2
	s_waitcnt lgkmcnt(0)
	s_add_u32 s4, s22, s4
	s_addc_u32 s5, s23, s5
	s_load_dwordx2 s[22:23], s[4:5], 0x0
	s_lshr_b32 s4, s17, 9
	s_and_b32 s4, s4, 0x7ffffe
	s_sub_i32 s4, 0, s4
	s_and_b32 s5, s0, s4
	s_lshl_b32 s7, s5, 10
	s_lshl_b32 s18, s0, 10
	;; [unrolled: 1-line block ×3, first 2 shown]
	s_sub_i32 s19, s18, s7
	s_add_i32 s5, s5, s17
	s_add_i32 s19, s5, s19
	s_waitcnt lgkmcnt(0)
	s_sub_i32 s26, s19, s22
	s_sub_i32 s19, s19, s23
	;; [unrolled: 1-line block ×3, first 2 shown]
	s_min_u32 s26, s16, s26
	s_addk_i32 s19, 0x400
	s_or_b32 s4, s0, s4
	s_min_u32 s7, s16, s5
	s_add_i32 s5, s5, s17
	s_cmp_eq_u32 s4, -1
	s_cselect_b32 s4, s5, s19
	s_cselect_b32 s5, s7, s23
	s_min_u32 s4, s4, s16
	s_mov_b32 s23, s1
	s_sub_i32 s19, s5, s22
	s_sub_i32 s29, s4, s26
	s_lshl_b64 s[4:5], s[22:23], 3
	s_add_u32 s7, s8, s4
	s_mov_b32 s27, s1
	s_addc_u32 s30, s9, s5
	s_lshl_b64 s[4:5], s[26:27], 3
	s_add_u32 s4, s8, s4
	s_addc_u32 s5, s9, s5
	s_cmp_lt_u32 s6, s28
	v_mov_b32_e32 v9, 0
	s_cselect_b32 s1, 12, 18
	global_load_dword v1, v9, s[2:3] offset:14
	s_add_u32 s2, s2, s1
	s_addc_u32 s3, s3, 0
	global_load_ushort v2, v9, s[2:3]
	v_cmp_gt_u32_e32 vcc, s19, v0
	s_cmp_eq_u32 s0, s31
	s_waitcnt vmcnt(1)
	v_lshrrev_b32_e32 v3, 16, v1
	v_and_b32_e32 v1, 0xffff, v1
	v_mul_lo_u32 v1, v1, v3
	s_waitcnt vmcnt(0)
	v_mul_lo_u32 v14, v1, v2
	v_add_u32_e32 v12, v14, v0
	v_lshlrev_b32_e32 v1, 3, v0
	v_add_u32_e32 v10, v12, v14
	s_cbranch_scc1 .LBB8_3
; %bb.2:
	v_mov_b32_e32 v2, s30
	v_add_co_u32_e64 v4, s[0:1], s7, v1
	v_subrev_u32_e32 v8, s19, v0
	v_addc_co_u32_e64 v5, s[0:1], 0, v2, s[0:1]
	v_lshlrev_b64 v[2:3], 3, v[8:9]
	v_mov_b32_e32 v6, s5
	v_add_co_u32_e64 v2, s[0:1], s4, v2
	v_addc_co_u32_e64 v3, s[0:1], v6, v3, s[0:1]
	v_mov_b32_e32 v13, v9
	v_cndmask_b32_e32 v3, v3, v5, vcc
	v_cndmask_b32_e32 v2, v2, v4, vcc
	v_lshlrev_b64 v[4:5], 3, v[12:13]
	v_mov_b32_e32 v6, s30
	v_add_co_u32_e32 v7, vcc, s7, v4
	v_subrev_u32_e32 v8, s19, v12
	v_addc_co_u32_e32 v6, vcc, v6, v5, vcc
	v_lshlrev_b64 v[4:5], 3, v[8:9]
	v_mov_b32_e32 v8, s5
	v_add_co_u32_e32 v4, vcc, s4, v4
	v_addc_co_u32_e32 v5, vcc, v8, v5, vcc
	v_cmp_gt_u32_e32 vcc, s19, v12
	v_mov_b32_e32 v11, v9
	v_cndmask_b32_e32 v5, v5, v6, vcc
	v_cndmask_b32_e32 v4, v4, v7, vcc
	v_lshlrev_b64 v[6:7], 3, v[10:11]
	v_mov_b32_e32 v8, s30
	v_add_co_u32_e32 v11, vcc, s7, v6
	v_addc_co_u32_e32 v13, vcc, v8, v7, vcc
	v_subrev_u32_e32 v8, s19, v10
	v_lshlrev_b64 v[6:7], 3, v[8:9]
	v_mov_b32_e32 v8, s5
	v_add_co_u32_e32 v6, vcc, s4, v6
	v_addc_co_u32_e32 v7, vcc, v8, v7, vcc
	v_add_u32_e32 v8, v10, v14
	v_cmp_gt_u32_e32 vcc, s19, v10
	v_lshlrev_b64 v[16:17], 3, v[8:9]
	v_cndmask_b32_e32 v7, v7, v13, vcc
	v_cndmask_b32_e32 v6, v6, v11, vcc
	v_mov_b32_e32 v11, s30
	v_add_co_u32_e32 v13, vcc, s7, v16
	v_addc_co_u32_e32 v11, vcc, v11, v17, vcc
	v_cmp_gt_u32_e32 vcc, s19, v8
	v_subrev_u32_e32 v8, s19, v8
	v_lshlrev_b64 v[8:9], 3, v[8:9]
	v_mov_b32_e32 v15, s5
	v_add_co_u32_e64 v8, s[0:1], s4, v8
	v_addc_co_u32_e64 v9, s[0:1], v15, v9, s[0:1]
	v_cndmask_b32_e32 v9, v9, v11, vcc
	v_cndmask_b32_e32 v8, v8, v13, vcc
	global_load_dwordx2 v[2:3], v[2:3], off
	s_add_i32 s17, s29, s19
	global_load_dwordx2 v[4:5], v[4:5], off
	s_nop 0
	global_load_dwordx2 v[6:7], v[6:7], off
	s_nop 0
	global_load_dwordx2 v[8:9], v[8:9], off
	s_cbranch_execz .LBB8_4
	s_branch .LBB8_11
.LBB8_3:
                                        ; implicit-def: $vgpr2_vgpr3_vgpr4_vgpr5_vgpr6_vgpr7_vgpr8_vgpr9
                                        ; implicit-def: $sgpr17
.LBB8_4:
	s_add_i32 s17, s29, s19
	v_cmp_gt_u32_e32 vcc, s17, v0
                                        ; implicit-def: $vgpr2_vgpr3_vgpr4_vgpr5_vgpr6_vgpr7_vgpr8_vgpr9
	s_and_saveexec_b64 s[0:1], vcc
	s_cbranch_execnz .LBB8_70
; %bb.5:
	s_or_b64 exec, exec, s[0:1]
	v_cmp_gt_u32_e32 vcc, s17, v12
	s_and_saveexec_b64 s[2:3], vcc
	s_cbranch_execnz .LBB8_71
.LBB8_6:
	s_or_b64 exec, exec, s[2:3]
	v_cmp_gt_u32_e32 vcc, s17, v10
	s_and_saveexec_b64 s[0:1], vcc
	s_cbranch_execz .LBB8_8
.LBB8_7:
	v_mov_b32_e32 v11, 0
	s_waitcnt vmcnt(1)
	v_lshlrev_b64 v[6:7], 3, v[10:11]
	v_mov_b32_e32 v12, s30
	v_add_co_u32_e32 v13, vcc, s7, v6
	v_addc_co_u32_e32 v12, vcc, v12, v7, vcc
	v_subrev_u32_e32 v6, s19, v10
	v_mov_b32_e32 v7, v11
	v_lshlrev_b64 v[6:7], 3, v[6:7]
	v_mov_b32_e32 v11, s5
	v_add_co_u32_e32 v6, vcc, s4, v6
	v_addc_co_u32_e32 v7, vcc, v11, v7, vcc
	v_cmp_gt_u32_e32 vcc, s19, v10
	v_cndmask_b32_e32 v7, v7, v12, vcc
	v_cndmask_b32_e32 v6, v6, v13, vcc
	global_load_dwordx2 v[6:7], v[6:7], off
.LBB8_8:
	s_or_b64 exec, exec, s[0:1]
	v_add_u32_e32 v10, v10, v14
	v_cmp_gt_u32_e32 vcc, s17, v10
	s_and_saveexec_b64 s[2:3], vcc
	s_cbranch_execz .LBB8_10
; %bb.9:
	v_mov_b32_e32 v11, 0
	s_waitcnt vmcnt(0)
	v_lshlrev_b64 v[8:9], 3, v[10:11]
	v_mov_b32_e32 v12, s30
	v_add_co_u32_e32 v13, vcc, s7, v8
	v_addc_co_u32_e32 v12, vcc, v12, v9, vcc
	v_cmp_gt_u32_e32 vcc, s19, v10
	v_subrev_u32_e32 v10, s19, v10
	v_lshlrev_b64 v[8:9], 3, v[10:11]
	v_mov_b32_e32 v10, s5
	v_add_co_u32_e64 v8, s[0:1], s4, v8
	v_addc_co_u32_e64 v9, s[0:1], v10, v9, s[0:1]
	v_cndmask_b32_e32 v9, v9, v12, vcc
	v_cndmask_b32_e32 v8, v8, v13, vcc
	global_load_dwordx2 v[8:9], v[8:9], off
.LBB8_10:
	s_or_b64 exec, exec, s[2:3]
.LBB8_11:
	v_lshlrev_b32_e32 v14, 2, v0
	v_min_u32_e32 v11, s17, v14
	v_sub_u32_e64 v10, v11, s29 clamp
	v_min_u32_e32 v12, s19, v11
	v_cmp_lt_u32_e32 vcc, v10, v12
	s_waitcnt vmcnt(0)
	ds_write2st64_b64 v1, v[2:3], v[4:5] offset1:4
	ds_write2st64_b64 v1, v[6:7], v[8:9] offset0:8 offset1:12
	s_waitcnt lgkmcnt(0)
	s_barrier
	s_and_saveexec_b64 s[0:1], vcc
	s_cbranch_execz .LBB8_15
; %bb.12:
	v_lshlrev_b32_e32 v13, 3, v11
	v_lshl_add_u32 v13, s19, 3, v13
	s_mov_b64 s[2:3], 0
.LBB8_13:                               ; =>This Inner Loop Header: Depth=1
	v_add_u32_e32 v15, v12, v10
	v_lshrrev_b32_e32 v15, 1, v15
	v_not_b32_e32 v18, v15
	v_lshlrev_b32_e32 v16, 3, v15
	v_lshl_add_u32 v18, v18, 3, v13
	ds_read_b64 v[16:17], v16
	ds_read_b64 v[18:19], v18
	v_add_u32_e32 v20, 1, v15
	s_waitcnt lgkmcnt(1)
	v_and_b32_e32 v17, s21, v17
	v_and_b32_e32 v16, s20, v16
	s_waitcnt lgkmcnt(0)
	v_and_b32_e32 v19, s21, v19
	v_and_b32_e32 v18, s20, v18
	v_cmp_gt_i64_e32 vcc, v[18:19], v[16:17]
	v_cndmask_b32_e32 v12, v12, v15, vcc
	v_cndmask_b32_e32 v10, v20, v10, vcc
	v_cmp_ge_u32_e32 vcc, v10, v12
	s_or_b64 s[2:3], vcc, s[2:3]
	s_andn2_b64 exec, exec, s[2:3]
	s_cbranch_execnz .LBB8_13
; %bb.14:
	s_or_b64 exec, exec, s[2:3]
.LBB8_15:
	s_or_b64 exec, exec, s[0:1]
	v_sub_u32_e32 v11, v11, v10
	v_add_u32_e32 v11, s19, v11
	v_cmp_ge_u32_e32 vcc, s19, v10
	v_cmp_ge_u32_e64 s[0:1], s17, v11
	s_or_b64 s[0:1], vcc, s[0:1]
                                        ; implicit-def: $vgpr17
                                        ; implicit-def: $vgpr18
                                        ; implicit-def: $vgpr16
                                        ; implicit-def: $vgpr15
	s_and_saveexec_b64 s[6:7], s[0:1]
	s_cbranch_execz .LBB8_21
; %bb.16:
	v_cmp_gt_u32_e32 vcc, s19, v10
                                        ; implicit-def: $vgpr2_vgpr3
	s_and_saveexec_b64 s[0:1], vcc
	s_cbranch_execz .LBB8_18
; %bb.17:
	v_lshlrev_b32_e32 v2, 3, v10
	ds_read_b64 v[2:3], v2
.LBB8_18:
	s_or_b64 exec, exec, s[0:1]
	v_cmp_le_u32_e64 s[0:1], s17, v11
	v_cmp_gt_u32_e64 s[2:3], s17, v11
                                        ; implicit-def: $vgpr4_vgpr5
	s_and_saveexec_b64 s[4:5], s[2:3]
	s_cbranch_execz .LBB8_20
; %bb.19:
	v_lshlrev_b32_e32 v4, 3, v11
	ds_read_b64 v[4:5], v4
.LBB8_20:
	s_or_b64 exec, exec, s[4:5]
	s_waitcnt lgkmcnt(0)
	v_and_b32_e32 v7, s21, v5
	v_and_b32_e32 v6, s20, v4
	;; [unrolled: 1-line block ×4, first 2 shown]
	v_cmp_le_i64_e64 s[2:3], v[6:7], v[8:9]
	s_and_b64 s[2:3], vcc, s[2:3]
	s_or_b64 vcc, s[0:1], s[2:3]
	v_mov_b32_e32 v12, s17
	v_mov_b32_e32 v13, s19
	v_cndmask_b32_e32 v15, v11, v10, vcc
	v_cndmask_b32_e32 v6, v12, v13, vcc
	v_add_u32_e32 v8, 1, v15
	v_add_u32_e32 v6, -1, v6
	v_min_u32_e32 v6, v8, v6
	v_lshlrev_b32_e32 v6, 3, v6
	ds_read_b64 v[6:7], v6
	v_cndmask_b32_e32 v11, v8, v11, vcc
	v_cndmask_b32_e32 v10, v10, v8, vcc
	v_cmp_gt_u32_e64 s[2:3], s19, v10
	v_cmp_le_u32_e64 s[0:1], s17, v11
	s_waitcnt lgkmcnt(0)
	v_cndmask_b32_e32 v17, v7, v5, vcc
	v_cndmask_b32_e32 v19, v6, v4, vcc
	;; [unrolled: 1-line block ×4, first 2 shown]
	v_and_b32_e32 v7, s21, v17
	v_and_b32_e32 v6, s20, v19
	;; [unrolled: 1-line block ×4, first 2 shown]
	v_cmp_le_i64_e64 s[4:5], v[6:7], v[8:9]
	s_and_b64 s[2:3], s[2:3], s[4:5]
	s_or_b64 s[0:1], s[0:1], s[2:3]
	v_cndmask_b32_e64 v16, v11, v10, s[0:1]
	v_cndmask_b32_e64 v6, v12, v13, s[0:1]
	v_add_u32_e32 v8, 1, v16
	v_add_u32_e32 v6, -1, v6
	v_min_u32_e32 v6, v8, v6
	v_lshlrev_b32_e32 v6, 3, v6
	ds_read_b64 v[6:7], v6
	v_cndmask_b32_e32 v3, v5, v3, vcc
	v_cndmask_b32_e32 v2, v4, v2, vcc
	v_cndmask_b32_e64 v10, v10, v8, s[0:1]
	v_cndmask_b32_e64 v11, v8, v11, s[0:1]
	s_waitcnt lgkmcnt(0)
	v_cndmask_b32_e64 v22, v7, v17, s[0:1]
	v_cndmask_b32_e64 v23, v6, v19, s[0:1]
	;; [unrolled: 1-line block ×4, first 2 shown]
	v_and_b32_e32 v5, s21, v22
	v_and_b32_e32 v4, s20, v23
	v_and_b32_e32 v7, s21, v24
	v_and_b32_e32 v6, s20, v25
	v_cmp_gt_u32_e64 s[2:3], s19, v10
	v_cmp_le_i64_e64 s[4:5], v[4:5], v[6:7]
	v_cmp_le_u32_e32 vcc, s17, v11
	s_and_b64 s[2:3], s[2:3], s[4:5]
	s_or_b64 vcc, vcc, s[2:3]
	v_cndmask_b32_e32 v18, v11, v10, vcc
	v_cndmask_b32_e32 v4, v12, v13, vcc
	v_add_u32_e32 v12, 1, v18
	v_add_u32_e32 v4, -1, v4
	v_min_u32_e32 v4, v12, v4
	v_lshlrev_b32_e32 v4, 3, v4
	ds_read_b64 v[8:9], v4
	v_cndmask_b32_e64 v5, v17, v20, s[0:1]
	v_cndmask_b32_e64 v4, v19, v21, s[0:1]
	v_cndmask_b32_e32 v17, v12, v11, vcc
	v_cndmask_b32_e32 v12, v10, v12, vcc
	s_waitcnt lgkmcnt(0)
	v_cndmask_b32_e32 v13, v9, v22, vcc
	v_cndmask_b32_e32 v19, v8, v23, vcc
	;; [unrolled: 1-line block ×4, first 2 shown]
	v_and_b32_e32 v9, s21, v13
	v_and_b32_e32 v8, s20, v19
	v_and_b32_e32 v11, s21, v20
	v_and_b32_e32 v10, s20, v21
	v_cmp_gt_u32_e64 s[0:1], s19, v12
	v_cmp_le_i64_e64 s[2:3], v[8:9], v[10:11]
	v_cndmask_b32_e32 v7, v22, v24, vcc
	v_cndmask_b32_e32 v6, v23, v25, vcc
	v_cmp_le_u32_e32 vcc, s17, v17
	s_and_b64 s[0:1], s[0:1], s[2:3]
	s_or_b64 vcc, vcc, s[0:1]
	v_cndmask_b32_e32 v17, v17, v12, vcc
	v_cndmask_b32_e32 v9, v13, v20, vcc
	;; [unrolled: 1-line block ×3, first 2 shown]
.LBB8_21:
	s_or_b64 exec, exec, s[6:7]
	s_add_u32 s20, s12, s22
	s_addc_u32 s21, s13, 0
	s_add_u32 s28, s12, s26
	v_cndmask_b32_e64 v10, 0, 1, s[24:25]
	s_addc_u32 s30, s13, 0
	v_cmp_gt_u32_e64 s[4:5], s19, v0
	v_cmp_ne_u32_e64 s[0:1], 1, v10
	s_andn2_b64 vcc, exec, s[24:25]
	v_cmp_le_u32_e64 s[2:3], s19, v0
	s_barrier
	s_cbranch_vccnz .LBB8_23
; %bb.22:
	v_subrev_u32_e32 v10, s19, v0
	v_mov_b32_e32 v11, s30
	v_add_co_u32_e32 v10, vcc, s28, v10
	v_addc_co_u32_e32 v11, vcc, 0, v11, vcc
	v_mov_b32_e32 v12, s21
	v_add_co_u32_e32 v13, vcc, s20, v0
	v_addc_co_u32_e32 v19, vcc, 0, v12, vcc
	v_cndmask_b32_e64 v11, v11, v19, s[4:5]
	v_cndmask_b32_e64 v10, v10, v13, s[4:5]
	s_movk_i32 s4, 0x100
	global_load_ubyte v20, v[10:11], off
	v_or_b32_e32 v10, 0x100, v0
	v_add_co_u32_e32 v12, vcc, s4, v13
	v_addc_co_u32_e32 v11, vcc, 0, v19, vcc
	v_subrev_u32_e32 v21, s19, v10
	v_mov_b32_e32 v22, s30
	v_add_co_u32_e32 v21, vcc, s28, v21
	v_addc_co_u32_e32 v22, vcc, 0, v22, vcc
	v_cmp_gt_u32_e32 vcc, s19, v10
	v_cndmask_b32_e32 v11, v22, v11, vcc
	v_cndmask_b32_e32 v10, v21, v12, vcc
	s_movk_i32 s4, 0x200
	global_load_ubyte v21, v[10:11], off
	v_or_b32_e32 v10, 0x200, v0
	v_add_co_u32_e32 v12, vcc, s4, v13
	v_addc_co_u32_e32 v11, vcc, 0, v19, vcc
	v_subrev_u32_e32 v22, s19, v10
	v_mov_b32_e32 v23, s30
	v_add_co_u32_e32 v22, vcc, s28, v22
	v_addc_co_u32_e32 v23, vcc, 0, v23, vcc
	v_cmp_gt_u32_e32 vcc, s19, v10
	v_cndmask_b32_e32 v11, v23, v11, vcc
	v_cndmask_b32_e32 v10, v22, v12, vcc
	global_load_ubyte v22, v[10:11], off
	v_or_b32_e32 v12, 0x300, v0
	v_subrev_u32_e32 v11, s19, v12
	v_mov_b32_e32 v10, s30
	v_add_co_u32_e32 v23, vcc, s28, v11
	s_movk_i32 s4, 0x300
	v_addc_co_u32_e32 v10, vcc, 0, v10, vcc
	v_add_co_u32_e32 v13, vcc, s4, v13
	v_addc_co_u32_e32 v11, vcc, 0, v19, vcc
	v_cmp_gt_u32_e32 vcc, s19, v12
	v_cndmask_b32_e32 v11, v10, v11, vcc
	v_cndmask_b32_e32 v10, v23, v13, vcc
	s_mov_b64 s[4:5], -1
	s_waitcnt vmcnt(2)
	ds_write_b8 v0, v20
	s_waitcnt vmcnt(1)
	ds_write_b8 v0, v21 offset:256
	s_waitcnt vmcnt(0)
	ds_write_b8 v0, v22 offset:512
	s_cbranch_execz .LBB8_24
	s_branch .LBB8_43
.LBB8_23:
	s_mov_b64 s[4:5], 0
                                        ; implicit-def: $vgpr12
                                        ; implicit-def: $vgpr10_vgpr11
.LBB8_24:
	s_mov_b64 s[6:7], 0
                                        ; implicit-def: $vgpr10_vgpr11
	s_and_saveexec_b64 s[8:9], s[2:3]
	s_xor_b64 s[2:3], exec, s[8:9]
	s_cbranch_execnz .LBB8_72
; %bb.25:
	s_andn2_saveexec_b64 s[2:3], s[2:3]
	s_cbranch_execnz .LBB8_75
.LBB8_26:
	s_or_b64 exec, exec, s[2:3]
	s_and_saveexec_b64 s[2:3], s[6:7]
	s_cbranch_execz .LBB8_28
.LBB8_27:
	global_load_ubyte v10, v[10:11], off
	s_waitcnt vmcnt(0)
	ds_write_b8 v0, v10
.LBB8_28:
	s_or_b64 exec, exec, s[2:3]
	v_or_b32_e32 v12, 0x100, v0
	v_cmp_le_u32_e32 vcc, s19, v12
	s_mov_b64 s[2:3], -1
	v_pk_mov_b32 v[10:11], s[22:23], s[22:23] op_sel:[0,1]
	s_and_saveexec_b64 s[6:7], vcc
; %bb.29:
	v_subrev_u32_e32 v12, s19, v12
	v_cmp_gt_u32_e32 vcc, s29, v12
	v_pk_mov_b32 v[10:11], s[26:27], s[26:27] op_sel:[0,1]
	s_orn2_b64 s[2:3], vcc, exec
; %bb.30:
	s_or_b64 exec, exec, s[6:7]
	s_and_saveexec_b64 s[6:7], s[2:3]
	s_cbranch_execz .LBB8_32
; %bb.31:
	v_mov_b32_e32 v13, s13
	v_add_co_u32_e32 v10, vcc, s12, v10
	v_addc_co_u32_e32 v11, vcc, v13, v11, vcc
	v_add_co_u32_e32 v10, vcc, v10, v12
	v_addc_co_u32_e32 v11, vcc, 0, v11, vcc
	global_load_ubyte v10, v[10:11], off
	s_waitcnt vmcnt(0)
	ds_write_b8 v0, v10 offset:256
.LBB8_32:
	s_or_b64 exec, exec, s[6:7]
	v_or_b32_e32 v12, 0x200, v0
	v_cmp_le_u32_e32 vcc, s19, v12
	s_mov_b64 s[2:3], -1
	v_pk_mov_b32 v[10:11], s[22:23], s[22:23] op_sel:[0,1]
	s_and_saveexec_b64 s[6:7], vcc
; %bb.33:
	v_subrev_u32_e32 v12, s19, v12
	v_cmp_gt_u32_e32 vcc, s29, v12
	v_pk_mov_b32 v[10:11], s[26:27], s[26:27] op_sel:[0,1]
	s_orn2_b64 s[2:3], vcc, exec
; %bb.34:
	s_or_b64 exec, exec, s[6:7]
	s_and_saveexec_b64 s[6:7], s[2:3]
	s_cbranch_execz .LBB8_36
; %bb.35:
	v_mov_b32_e32 v13, s13
	v_add_co_u32_e32 v10, vcc, s12, v10
	v_addc_co_u32_e32 v11, vcc, v13, v11, vcc
	v_add_co_u32_e32 v10, vcc, v10, v12
	v_addc_co_u32_e32 v11, vcc, 0, v11, vcc
	global_load_ubyte v10, v[10:11], off
	s_waitcnt vmcnt(0)
	ds_write_b8 v0, v10 offset:512
.LBB8_36:
	s_or_b64 exec, exec, s[6:7]
	v_or_b32_e32 v13, 0x300, v0
	v_cmp_le_u32_e32 vcc, s19, v13
                                        ; implicit-def: $vgpr12
                                        ; implicit-def: $vgpr10_vgpr11
	s_and_saveexec_b64 s[2:3], vcc
	s_xor_b64 s[2:3], exec, s[2:3]
	s_cbranch_execz .LBB8_40
; %bb.37:
	v_subrev_u32_e32 v13, s19, v13
	v_cmp_gt_u32_e32 vcc, s29, v13
	s_mov_b64 s[8:9], s[4:5]
                                        ; implicit-def: $vgpr12
                                        ; implicit-def: $vgpr10_vgpr11
	s_and_saveexec_b64 s[6:7], vcc
; %bb.38:
	v_mov_b32_e32 v11, s30
	v_add_co_u32_e32 v10, vcc, s28, v13
	v_or_b32_e32 v12, 0x300, v0
	v_addc_co_u32_e32 v11, vcc, 0, v11, vcc
	s_or_b64 s[8:9], s[4:5], exec
; %bb.39:
	s_or_b64 exec, exec, s[6:7]
	s_andn2_b64 s[4:5], s[4:5], exec
	s_and_b64 s[6:7], s[8:9], exec
	s_or_b64 s[4:5], s[4:5], s[6:7]
.LBB8_40:
	s_andn2_saveexec_b64 s[2:3], s[2:3]
; %bb.41:
	v_mov_b32_e32 v10, s21
	v_add_co_u32_e32 v11, vcc, s20, v0
	v_addc_co_u32_e32 v12, vcc, 0, v10, vcc
	v_add_co_u32_e32 v10, vcc, 0x300, v11
	v_addc_co_u32_e32 v11, vcc, 0, v12, vcc
	v_or_b32_e32 v12, 0x300, v0
	s_or_b64 s[4:5], s[4:5], exec
; %bb.42:
	s_or_b64 exec, exec, s[2:3]
.LBB8_43:
	s_and_saveexec_b64 s[2:3], s[4:5]
	s_cbranch_execz .LBB8_45
; %bb.44:
	global_load_ubyte v10, v[10:11], off
	s_waitcnt vmcnt(0)
	ds_write_b8 v12, v10
.LBB8_45:
	s_or_b64 exec, exec, s[2:3]
	s_and_b64 vcc, exec, s[0:1]
	v_add_u32_e32 v10, s18, v14
	s_waitcnt lgkmcnt(0)
	s_barrier
	s_cbranch_vccnz .LBB8_47
; %bb.46:
	ds_read_u8 v11, v16
	ds_read_u8 v12, v18
	;; [unrolled: 1-line block ×3, first 2 shown]
	v_mov_b32_e32 v13, 0
	s_waitcnt lgkmcnt(2)
	v_lshlrev_b16_e32 v11, 8, v11
	s_mov_b64 s[0:1], -1
	s_waitcnt lgkmcnt(0)
	v_or_b32_e32 v11, v19, v11
	global_store_byte v10, v12, s[14:15] offset:2
	global_store_short v10, v11, s[14:15]
	s_cbranch_execz .LBB8_48
	s_branch .LBB8_57
.LBB8_47:
	s_mov_b64 s[0:1], 0
                                        ; implicit-def: $vgpr12_vgpr13
.LBB8_48:
	v_cmp_gt_u32_e32 vcc, s17, v14
	s_and_saveexec_b64 s[2:3], vcc
	s_cbranch_execz .LBB8_50
; %bb.49:
	ds_read_u8 v11, v15
	s_waitcnt lgkmcnt(0)
	global_store_byte v10, v11, s[14:15]
.LBB8_50:
	s_or_b64 exec, exec, s[2:3]
	v_or_b32_e32 v11, 1, v14
	v_cmp_gt_u32_e32 vcc, s17, v11
	s_and_saveexec_b64 s[2:3], vcc
	s_cbranch_execz .LBB8_52
; %bb.51:
	ds_read_u8 v11, v16
	s_waitcnt lgkmcnt(0)
	global_store_byte v10, v11, s[14:15] offset:1
.LBB8_52:
	s_or_b64 exec, exec, s[2:3]
	v_or_b32_e32 v11, 2, v14
	v_cmp_gt_u32_e32 vcc, s17, v11
	s_and_saveexec_b64 s[2:3], vcc
	s_cbranch_execz .LBB8_54
; %bb.53:
	ds_read_u8 v11, v18
	s_waitcnt lgkmcnt(0)
	global_store_byte v10, v11, s[14:15] offset:2
.LBB8_54:
	s_or_b64 exec, exec, s[2:3]
	v_or_b32_e32 v11, 3, v14
	v_cmp_gt_u32_e32 vcc, s17, v11
	s_and_saveexec_b64 s[2:3], vcc
                                        ; implicit-def: $vgpr12_vgpr13
; %bb.55:
	v_mov_b32_e32 v13, 0
	s_or_b64 s[0:1], s[0:1], exec
; %bb.56:
	s_or_b64 exec, exec, s[2:3]
.LBB8_57:
	s_and_saveexec_b64 s[2:3], s[0:1]
	s_cbranch_execz .LBB8_59
; %bb.58:
	ds_read_u8 v12, v17
	v_mov_b32_e32 v11, s15
	v_add_co_u32_e32 v10, vcc, s14, v10
	v_addc_co_u32_e32 v11, vcc, v11, v13, vcc
	s_waitcnt lgkmcnt(0)
	global_store_byte v[10:11], v12, off offset:3
.LBB8_59:
	s_or_b64 exec, exec, s[2:3]
	v_and_b32_e32 v10, 0xf8, v0
	v_lshl_add_u32 v10, v14, 3, v10
	s_barrier
	s_barrier
	ds_write2_b64 v10, v[2:3], v[4:5] offset1:1
	ds_write2_b64 v10, v[6:7], v[8:9] offset0:2 offset1:3
	v_lshrrev_b32_e32 v2, 2, v0
	v_and_b32_e32 v2, 56, v2
	v_or_b32_e32 v12, 0x100, v0
	v_add_u32_e32 v13, v1, v2
	v_lshrrev_b32_e32 v2, 2, v12
	v_and_b32_e32 v2, 0x78, v2
	v_or_b32_e32 v11, 0x200, v0
	s_mov_b32 s19, 0
	v_add_u32_e32 v6, v1, v2
	v_lshrrev_b32_e32 v2, 2, v11
	s_lshl_b64 s[0:1], s[18:19], 3
	v_and_b32_e32 v2, 0xb8, v2
	v_or_b32_e32 v10, 0x300, v0
	s_add_u32 s0, s10, s0
	v_add_u32_e32 v7, v1, v2
	v_lshrrev_b32_e32 v2, 2, v10
	s_addc_u32 s1, s11, s1
	v_and_b32_e32 v2, 0xf8, v2
	v_add_u32_e32 v14, v1, v2
	v_mov_b32_e32 v3, s1
	v_add_co_u32_e32 v2, vcc, s0, v1
	v_addc_co_u32_e32 v3, vcc, 0, v3, vcc
	s_and_b64 vcc, exec, s[24:25]
	s_waitcnt lgkmcnt(0)
	s_cbranch_vccz .LBB8_61
; %bb.60:
	s_barrier
	ds_read_b64 v[8:9], v13
	ds_read_b64 v[16:17], v6 offset:2048
	ds_read_b64 v[18:19], v7 offset:4096
	;; [unrolled: 1-line block ×3, first 2 shown]
	s_waitcnt lgkmcnt(3)
	global_store_dwordx2 v[2:3], v[8:9], off
	s_waitcnt lgkmcnt(2)
	global_store_dwordx2 v[2:3], v[16:17], off offset:2048
	v_add_co_u32_e32 v8, vcc, 0x1000, v2
	v_addc_co_u32_e32 v9, vcc, 0, v3, vcc
	s_waitcnt lgkmcnt(1)
	global_store_dwordx2 v[8:9], v[18:19], off
	s_mov_b64 s[0:1], -1
	s_cbranch_execz .LBB8_62
	s_branch .LBB8_67
.LBB8_61:
	s_mov_b64 s[0:1], 0
                                        ; implicit-def: $vgpr4_vgpr5
.LBB8_62:
	s_barrier
	s_waitcnt lgkmcnt(0)
	ds_read_b64 v[8:9], v6 offset:2048
	ds_read_b64 v[6:7], v7 offset:4096
	;; [unrolled: 1-line block ×3, first 2 shown]
	s_sub_i32 s2, s16, s18
	v_cmp_gt_u32_e32 vcc, s2, v0
	s_and_saveexec_b64 s[0:1], vcc
	s_cbranch_execnz .LBB8_76
; %bb.63:
	s_or_b64 exec, exec, s[0:1]
	v_cmp_gt_u32_e32 vcc, s2, v12
	s_and_saveexec_b64 s[0:1], vcc
	s_cbranch_execnz .LBB8_77
.LBB8_64:
	s_or_b64 exec, exec, s[0:1]
	v_cmp_gt_u32_e32 vcc, s2, v11
	s_and_saveexec_b64 s[0:1], vcc
	s_cbranch_execz .LBB8_66
.LBB8_65:
	v_add_co_u32_e32 v0, vcc, 0x1000, v2
	v_addc_co_u32_e32 v1, vcc, 0, v3, vcc
	s_waitcnt lgkmcnt(1)
	global_store_dwordx2 v[0:1], v[6:7], off
.LBB8_66:
	s_or_b64 exec, exec, s[0:1]
	v_cmp_gt_u32_e64 s[0:1], s2, v10
.LBB8_67:
	s_and_saveexec_b64 s[2:3], s[0:1]
	s_cbranch_execz .LBB8_69
; %bb.68:
	v_add_co_u32_e32 v0, vcc, 0x1000, v2
	v_addc_co_u32_e32 v1, vcc, 0, v3, vcc
	s_waitcnt lgkmcnt(0)
	global_store_dwordx2 v[0:1], v[4:5], off offset:2048
.LBB8_69:
	s_endpgm
.LBB8_70:
	s_waitcnt vmcnt(3)
	v_mov_b32_e32 v2, s30
	s_waitcnt vmcnt(2)
	v_add_co_u32_e32 v4, vcc, s7, v1
	v_mov_b32_e32 v3, 0
	v_addc_co_u32_e32 v5, vcc, 0, v2, vcc
	v_subrev_u32_e32 v2, s19, v0
	v_lshlrev_b64 v[2:3], 3, v[2:3]
	s_waitcnt vmcnt(1)
	v_mov_b32_e32 v6, s5
	v_add_co_u32_e32 v2, vcc, s4, v2
	v_addc_co_u32_e32 v3, vcc, v6, v3, vcc
	v_cmp_gt_u32_e32 vcc, s19, v0
	v_cndmask_b32_e32 v3, v3, v5, vcc
	v_cndmask_b32_e32 v2, v2, v4, vcc
	global_load_dwordx2 v[2:3], v[2:3], off
	s_or_b64 exec, exec, s[0:1]
	v_cmp_gt_u32_e32 vcc, s17, v12
	s_and_saveexec_b64 s[2:3], vcc
	s_cbranch_execz .LBB8_6
.LBB8_71:
	v_mov_b32_e32 v13, 0
	s_waitcnt vmcnt(2)
	v_lshlrev_b64 v[4:5], 3, v[12:13]
	v_mov_b32_e32 v11, s30
	v_add_co_u32_e32 v15, vcc, s7, v4
	v_addc_co_u32_e32 v11, vcc, v11, v5, vcc
	v_cmp_gt_u32_e32 vcc, s19, v12
	v_subrev_u32_e32 v12, s19, v12
	v_lshlrev_b64 v[4:5], 3, v[12:13]
	v_mov_b32_e32 v12, s5
	v_add_co_u32_e64 v4, s[0:1], s4, v4
	v_addc_co_u32_e64 v5, s[0:1], v12, v5, s[0:1]
	v_cndmask_b32_e32 v5, v5, v11, vcc
	v_cndmask_b32_e32 v4, v4, v15, vcc
	global_load_dwordx2 v[4:5], v[4:5], off
	s_or_b64 exec, exec, s[2:3]
	v_cmp_gt_u32_e32 vcc, s17, v10
	s_and_saveexec_b64 s[0:1], vcc
	s_cbranch_execnz .LBB8_7
	s_branch .LBB8_8
.LBB8_72:
	v_subrev_u32_e32 v12, s19, v0
	v_cmp_gt_u32_e32 vcc, s29, v12
                                        ; implicit-def: $vgpr10_vgpr11
	s_and_saveexec_b64 s[8:9], vcc
	s_xor_b64 s[8:9], exec, s[8:9]
; %bb.73:
	v_mov_b32_e32 v11, s30
	v_add_co_u32_e32 v10, vcc, s28, v12
	s_mov_b64 s[6:7], exec
	v_addc_co_u32_e32 v11, vcc, 0, v11, vcc
; %bb.74:
	s_or_b64 exec, exec, s[8:9]
	s_and_b64 s[6:7], s[6:7], exec
	s_andn2_saveexec_b64 s[2:3], s[2:3]
	s_cbranch_execz .LBB8_26
.LBB8_75:
	v_mov_b32_e32 v11, s21
	v_add_co_u32_e32 v10, vcc, s20, v0
	v_addc_co_u32_e32 v11, vcc, 0, v11, vcc
	s_or_b64 s[6:7], s[6:7], exec
	s_or_b64 exec, exec, s[2:3]
	s_and_saveexec_b64 s[2:3], s[6:7]
	s_cbranch_execnz .LBB8_27
	s_branch .LBB8_28
.LBB8_76:
	ds_read_b64 v[0:1], v13
	s_waitcnt lgkmcnt(0)
	global_store_dwordx2 v[2:3], v[0:1], off
	s_or_b64 exec, exec, s[0:1]
	v_cmp_gt_u32_e32 vcc, s2, v12
	s_and_saveexec_b64 s[0:1], vcc
	s_cbranch_execz .LBB8_64
.LBB8_77:
	s_waitcnt lgkmcnt(2)
	global_store_dwordx2 v[2:3], v[8:9], off offset:2048
	s_or_b64 exec, exec, s[0:1]
	v_cmp_gt_u32_e32 vcc, s2, v11
	s_and_saveexec_b64 s[0:1], vcc
	s_cbranch_execnz .LBB8_65
	s_branch .LBB8_66
	.section	.rodata,"a",@progbits
	.p2align	6, 0x0
	.amdhsa_kernel _ZN7rocprim17ROCPRIM_304000_NS6detail35device_block_merge_mergepath_kernelINS1_37wrapped_merge_sort_block_merge_configINS0_14default_configElN2at4cuda3cub6detail10OpaqueTypeILi1EEEEEPlSC_PSA_SD_jNS1_19radix_merge_compareILb1ELb1ElNS0_19identity_decomposerEEEEEvT0_T1_T2_T3_T4_SL_jT5_PKSL_NS1_7vsmem_tE
		.amdhsa_group_segment_fixed_size 8448
		.amdhsa_private_segment_fixed_size 0
		.amdhsa_kernarg_size 328
		.amdhsa_user_sgpr_count 6
		.amdhsa_user_sgpr_private_segment_buffer 1
		.amdhsa_user_sgpr_dispatch_ptr 0
		.amdhsa_user_sgpr_queue_ptr 0
		.amdhsa_user_sgpr_kernarg_segment_ptr 1
		.amdhsa_user_sgpr_dispatch_id 0
		.amdhsa_user_sgpr_flat_scratch_init 0
		.amdhsa_user_sgpr_kernarg_preload_length 0
		.amdhsa_user_sgpr_kernarg_preload_offset 0
		.amdhsa_user_sgpr_private_segment_size 0
		.amdhsa_uses_dynamic_stack 0
		.amdhsa_system_sgpr_private_segment_wavefront_offset 0
		.amdhsa_system_sgpr_workgroup_id_x 1
		.amdhsa_system_sgpr_workgroup_id_y 1
		.amdhsa_system_sgpr_workgroup_id_z 1
		.amdhsa_system_sgpr_workgroup_info 0
		.amdhsa_system_vgpr_workitem_id 0
		.amdhsa_next_free_vgpr 26
		.amdhsa_next_free_sgpr 32
		.amdhsa_accum_offset 28
		.amdhsa_reserve_vcc 1
		.amdhsa_reserve_flat_scratch 0
		.amdhsa_float_round_mode_32 0
		.amdhsa_float_round_mode_16_64 0
		.amdhsa_float_denorm_mode_32 3
		.amdhsa_float_denorm_mode_16_64 3
		.amdhsa_dx10_clamp 1
		.amdhsa_ieee_mode 1
		.amdhsa_fp16_overflow 0
		.amdhsa_tg_split 0
		.amdhsa_exception_fp_ieee_invalid_op 0
		.amdhsa_exception_fp_denorm_src 0
		.amdhsa_exception_fp_ieee_div_zero 0
		.amdhsa_exception_fp_ieee_overflow 0
		.amdhsa_exception_fp_ieee_underflow 0
		.amdhsa_exception_fp_ieee_inexact 0
		.amdhsa_exception_int_div_zero 0
	.end_amdhsa_kernel
	.section	.text._ZN7rocprim17ROCPRIM_304000_NS6detail35device_block_merge_mergepath_kernelINS1_37wrapped_merge_sort_block_merge_configINS0_14default_configElN2at4cuda3cub6detail10OpaqueTypeILi1EEEEEPlSC_PSA_SD_jNS1_19radix_merge_compareILb1ELb1ElNS0_19identity_decomposerEEEEEvT0_T1_T2_T3_T4_SL_jT5_PKSL_NS1_7vsmem_tE,"axG",@progbits,_ZN7rocprim17ROCPRIM_304000_NS6detail35device_block_merge_mergepath_kernelINS1_37wrapped_merge_sort_block_merge_configINS0_14default_configElN2at4cuda3cub6detail10OpaqueTypeILi1EEEEEPlSC_PSA_SD_jNS1_19radix_merge_compareILb1ELb1ElNS0_19identity_decomposerEEEEEvT0_T1_T2_T3_T4_SL_jT5_PKSL_NS1_7vsmem_tE,comdat
.Lfunc_end8:
	.size	_ZN7rocprim17ROCPRIM_304000_NS6detail35device_block_merge_mergepath_kernelINS1_37wrapped_merge_sort_block_merge_configINS0_14default_configElN2at4cuda3cub6detail10OpaqueTypeILi1EEEEEPlSC_PSA_SD_jNS1_19radix_merge_compareILb1ELb1ElNS0_19identity_decomposerEEEEEvT0_T1_T2_T3_T4_SL_jT5_PKSL_NS1_7vsmem_tE, .Lfunc_end8-_ZN7rocprim17ROCPRIM_304000_NS6detail35device_block_merge_mergepath_kernelINS1_37wrapped_merge_sort_block_merge_configINS0_14default_configElN2at4cuda3cub6detail10OpaqueTypeILi1EEEEEPlSC_PSA_SD_jNS1_19radix_merge_compareILb1ELb1ElNS0_19identity_decomposerEEEEEvT0_T1_T2_T3_T4_SL_jT5_PKSL_NS1_7vsmem_tE
                                        ; -- End function
	.section	.AMDGPU.csdata,"",@progbits
; Kernel info:
; codeLenInByte = 3372
; NumSgprs: 36
; NumVgprs: 26
; NumAgprs: 0
; TotalNumVgprs: 26
; ScratchSize: 0
; MemoryBound: 0
; FloatMode: 240
; IeeeMode: 1
; LDSByteSize: 8448 bytes/workgroup (compile time only)
; SGPRBlocks: 4
; VGPRBlocks: 3
; NumSGPRsForWavesPerEU: 36
; NumVGPRsForWavesPerEU: 26
; AccumOffset: 28
; Occupancy: 7
; WaveLimiterHint : 1
; COMPUTE_PGM_RSRC2:SCRATCH_EN: 0
; COMPUTE_PGM_RSRC2:USER_SGPR: 6
; COMPUTE_PGM_RSRC2:TRAP_HANDLER: 0
; COMPUTE_PGM_RSRC2:TGID_X_EN: 1
; COMPUTE_PGM_RSRC2:TGID_Y_EN: 1
; COMPUTE_PGM_RSRC2:TGID_Z_EN: 1
; COMPUTE_PGM_RSRC2:TIDIG_COMP_CNT: 0
; COMPUTE_PGM_RSRC3_GFX90A:ACCUM_OFFSET: 6
; COMPUTE_PGM_RSRC3_GFX90A:TG_SPLIT: 0
	.section	.text._ZN7rocprim17ROCPRIM_304000_NS6detail33device_block_merge_oddeven_kernelINS1_37wrapped_merge_sort_block_merge_configINS0_14default_configElN2at4cuda3cub6detail10OpaqueTypeILi1EEEEEPlSC_PSA_SD_jNS1_19radix_merge_compareILb1ELb1ElNS0_19identity_decomposerEEEEEvT0_T1_T2_T3_T4_SL_T5_,"axG",@progbits,_ZN7rocprim17ROCPRIM_304000_NS6detail33device_block_merge_oddeven_kernelINS1_37wrapped_merge_sort_block_merge_configINS0_14default_configElN2at4cuda3cub6detail10OpaqueTypeILi1EEEEEPlSC_PSA_SD_jNS1_19radix_merge_compareILb1ELb1ElNS0_19identity_decomposerEEEEEvT0_T1_T2_T3_T4_SL_T5_,comdat
	.protected	_ZN7rocprim17ROCPRIM_304000_NS6detail33device_block_merge_oddeven_kernelINS1_37wrapped_merge_sort_block_merge_configINS0_14default_configElN2at4cuda3cub6detail10OpaqueTypeILi1EEEEEPlSC_PSA_SD_jNS1_19radix_merge_compareILb1ELb1ElNS0_19identity_decomposerEEEEEvT0_T1_T2_T3_T4_SL_T5_ ; -- Begin function _ZN7rocprim17ROCPRIM_304000_NS6detail33device_block_merge_oddeven_kernelINS1_37wrapped_merge_sort_block_merge_configINS0_14default_configElN2at4cuda3cub6detail10OpaqueTypeILi1EEEEEPlSC_PSA_SD_jNS1_19radix_merge_compareILb1ELb1ElNS0_19identity_decomposerEEEEEvT0_T1_T2_T3_T4_SL_T5_
	.globl	_ZN7rocprim17ROCPRIM_304000_NS6detail33device_block_merge_oddeven_kernelINS1_37wrapped_merge_sort_block_merge_configINS0_14default_configElN2at4cuda3cub6detail10OpaqueTypeILi1EEEEEPlSC_PSA_SD_jNS1_19radix_merge_compareILb1ELb1ElNS0_19identity_decomposerEEEEEvT0_T1_T2_T3_T4_SL_T5_
	.p2align	8
	.type	_ZN7rocprim17ROCPRIM_304000_NS6detail33device_block_merge_oddeven_kernelINS1_37wrapped_merge_sort_block_merge_configINS0_14default_configElN2at4cuda3cub6detail10OpaqueTypeILi1EEEEEPlSC_PSA_SD_jNS1_19radix_merge_compareILb1ELb1ElNS0_19identity_decomposerEEEEEvT0_T1_T2_T3_T4_SL_T5_,@function
_ZN7rocprim17ROCPRIM_304000_NS6detail33device_block_merge_oddeven_kernelINS1_37wrapped_merge_sort_block_merge_configINS0_14default_configElN2at4cuda3cub6detail10OpaqueTypeILi1EEEEEPlSC_PSA_SD_jNS1_19radix_merge_compareILb1ELb1ElNS0_19identity_decomposerEEEEEvT0_T1_T2_T3_T4_SL_T5_: ; @_ZN7rocprim17ROCPRIM_304000_NS6detail33device_block_merge_oddeven_kernelINS1_37wrapped_merge_sort_block_merge_configINS0_14default_configElN2at4cuda3cub6detail10OpaqueTypeILi1EEEEEPlSC_PSA_SD_jNS1_19radix_merge_compareILb1ELb1ElNS0_19identity_decomposerEEEEEvT0_T1_T2_T3_T4_SL_T5_
; %bb.0:
	s_load_dwordx2 s[18:19], s[4:5], 0x20
	s_waitcnt lgkmcnt(0)
	s_lshr_b32 s2, s18, 8
	s_cmp_lg_u32 s6, s2
	s_cselect_b64 s[0:1], -1, 0
	s_cmp_eq_u32 s6, s2
	s_cselect_b64 s[16:17], -1, 0
	s_lshl_b32 s20, s6, 8
	s_sub_i32 s2, s18, s20
	v_cmp_gt_u32_e64 s[2:3], s2, v0
	s_or_b64 s[0:1], s[0:1], s[2:3]
	s_and_saveexec_b64 s[8:9], s[0:1]
	s_cbranch_execz .LBB9_26
; %bb.1:
	s_load_dwordx8 s[8:15], s[4:5], 0x0
	s_mov_b32 s21, 0
	s_lshl_b64 s[0:1], s[20:21], 3
	v_lshlrev_b32_e32 v1, 3, v0
	v_add_u32_e32 v4, s20, v0
	s_waitcnt lgkmcnt(0)
	s_add_u32 s0, s8, s0
	s_addc_u32 s1, s9, s1
	s_add_u32 s12, s12, s20
	s_addc_u32 s13, s13, 0
	global_load_ubyte v6, v0, s[12:13]
	global_load_dwordx2 v[2:3], v1, s[0:1]
	s_lshr_b32 s0, s19, 8
	s_sub_i32 s1, 0, s0
	s_and_b32 s1, s6, s1
	s_and_b32 s0, s1, s0
	s_lshl_b32 s23, s1, 8
	s_sub_i32 s12, 0, s19
	s_cmp_eq_u32 s0, 0
	s_cselect_b64 s[0:1], -1, 0
	s_and_b64 s[6:7], s[0:1], exec
	s_cselect_b32 s22, s19, s12
	s_add_i32 s22, s22, s23
	s_cmp_lt_u32 s22, s18
	s_cbranch_scc1 .LBB9_6
; %bb.2:
	s_and_b64 vcc, exec, s[16:17]
	s_cbranch_vccz .LBB9_7
; %bb.3:
	v_cmp_gt_u32_e32 vcc, s18, v4
	s_mov_b64 s[12:13], 0
	s_mov_b64 s[6:7], 0
                                        ; implicit-def: $vgpr0_vgpr1
	s_and_saveexec_b64 s[20:21], vcc
	s_cbranch_execz .LBB9_5
; %bb.4:
	v_mov_b32_e32 v5, 0
	v_mov_b32_e32 v1, s15
	v_add_co_u32_e32 v0, vcc, s14, v4
	v_addc_co_u32_e32 v1, vcc, 0, v1, vcc
	v_lshlrev_b64 v[8:9], 3, v[4:5]
	v_mov_b32_e32 v5, s11
	v_add_co_u32_e32 v8, vcc, s10, v8
	s_mov_b64 s[6:7], exec
	v_addc_co_u32_e32 v9, vcc, v5, v9, vcc
	s_waitcnt vmcnt(0)
	global_store_dwordx2 v[8:9], v[2:3], off
.LBB9_5:
	s_or_b64 exec, exec, s[20:21]
	s_and_b64 vcc, exec, s[12:13]
	s_cbranch_vccnz .LBB9_8
	s_branch .LBB9_9
.LBB9_6:
	s_mov_b64 s[6:7], 0
                                        ; implicit-def: $vgpr0_vgpr1
	s_cbranch_execnz .LBB9_10
	s_branch .LBB9_24
.LBB9_7:
	s_mov_b64 s[6:7], 0
                                        ; implicit-def: $vgpr0_vgpr1
	s_cbranch_execz .LBB9_9
.LBB9_8:
	v_mov_b32_e32 v5, 0
	v_lshlrev_b64 v[0:1], 3, v[4:5]
	v_mov_b32_e32 v5, s11
	v_add_co_u32_e32 v0, vcc, s10, v0
	v_addc_co_u32_e32 v1, vcc, v5, v1, vcc
	s_waitcnt vmcnt(0)
	global_store_dwordx2 v[0:1], v[2:3], off
	v_mov_b32_e32 v1, s15
	v_add_co_u32_e32 v0, vcc, s14, v4
	v_addc_co_u32_e32 v1, vcc, 0, v1, vcc
	s_or_b64 s[6:7], s[6:7], exec
.LBB9_9:
	s_branch .LBB9_24
.LBB9_10:
	s_min_u32 s20, s22, s18
	s_load_dwordx2 s[4:5], s[4:5], 0x28
	s_add_i32 s12, s20, s19
	s_min_u32 s18, s12, s18
	s_min_u32 s12, s23, s20
	s_add_i32 s23, s23, s20
	v_subrev_u32_e32 v0, s23, v4
	v_add_u32_e32 v7, s12, v0
	s_and_b64 vcc, exec, s[16:17]
	s_cbranch_vccz .LBB9_18
; %bb.11:
                                        ; implicit-def: $vgpr0_vgpr1
	s_and_saveexec_b64 s[12:13], s[2:3]
	s_cbranch_execz .LBB9_17
; %bb.12:
	s_cmp_ge_u32 s22, s18
	v_mov_b32_e32 v8, s20
	s_cbranch_scc1 .LBB9_16
; %bb.13:
	s_waitcnt vmcnt(0) lgkmcnt(0)
	v_and_b32_e32 v1, s5, v3
	v_and_b32_e32 v0, s4, v2
	s_mov_b64 s[2:3], 0
	v_mov_b32_e32 v9, s18
	v_mov_b32_e32 v8, s20
	;; [unrolled: 1-line block ×4, first 2 shown]
.LBB9_14:                               ; =>This Inner Loop Header: Depth=1
	v_add_u32_e32 v4, v8, v9
	v_lshrrev_b32_e32 v4, 1, v4
	v_lshlrev_b64 v[12:13], 3, v[4:5]
	v_add_co_u32_e32 v12, vcc, s8, v12
	v_addc_co_u32_e32 v13, vcc, v10, v13, vcc
	global_load_dwordx2 v[12:13], v[12:13], off
	v_add_u32_e32 v11, 1, v4
	s_waitcnt vmcnt(0)
	v_and_b32_e32 v13, s5, v13
	v_and_b32_e32 v12, s4, v12
	v_cmp_gt_i64_e32 vcc, v[12:13], v[0:1]
	v_cndmask_b32_e64 v14, 0, 1, vcc
	v_cmp_le_i64_e32 vcc, v[0:1], v[12:13]
	v_cndmask_b32_e64 v12, 0, 1, vcc
	v_cndmask_b32_e64 v12, v12, v14, s[0:1]
	v_and_b32_e32 v12, 1, v12
	v_cmp_eq_u32_e32 vcc, 1, v12
	v_cndmask_b32_e32 v9, v4, v9, vcc
	v_cndmask_b32_e32 v8, v8, v11, vcc
	v_cmp_ge_u32_e32 vcc, v8, v9
	s_or_b64 s[2:3], vcc, s[2:3]
	s_andn2_b64 exec, exec, s[2:3]
	s_cbranch_execnz .LBB9_14
; %bb.15:
	s_or_b64 exec, exec, s[2:3]
.LBB9_16:
	v_add_u32_e32 v0, v8, v7
	v_mov_b32_e32 v1, 0
	v_lshlrev_b64 v[4:5], 3, v[0:1]
	v_mov_b32_e32 v1, s11
	v_add_co_u32_e32 v4, vcc, s10, v4
	v_addc_co_u32_e32 v5, vcc, v1, v5, vcc
	v_mov_b32_e32 v1, s15
	v_add_co_u32_e32 v0, vcc, s14, v0
	s_waitcnt vmcnt(0)
	global_store_dwordx2 v[4:5], v[2:3], off
	v_addc_co_u32_e32 v1, vcc, 0, v1, vcc
	s_or_b64 s[6:7], s[6:7], exec
.LBB9_17:
	s_or_b64 exec, exec, s[12:13]
	s_branch .LBB9_24
.LBB9_18:
                                        ; implicit-def: $vgpr0_vgpr1
	s_cbranch_execz .LBB9_24
; %bb.19:
	s_cmp_ge_u32 s22, s18
	v_mov_b32_e32 v8, s20
	s_cbranch_scc1 .LBB9_23
; %bb.20:
	s_waitcnt vmcnt(0) lgkmcnt(0)
	v_and_b32_e32 v1, s5, v3
	v_and_b32_e32 v0, s4, v2
	s_mov_b64 s[2:3], 0
	v_mov_b32_e32 v9, s18
	v_mov_b32_e32 v8, s20
	;; [unrolled: 1-line block ×4, first 2 shown]
.LBB9_21:                               ; =>This Inner Loop Header: Depth=1
	v_add_u32_e32 v4, v8, v9
	v_lshrrev_b32_e32 v4, 1, v4
	v_lshlrev_b64 v[12:13], 3, v[4:5]
	v_add_co_u32_e32 v12, vcc, s8, v12
	v_addc_co_u32_e32 v13, vcc, v10, v13, vcc
	global_load_dwordx2 v[12:13], v[12:13], off
	v_add_u32_e32 v11, 1, v4
	s_waitcnt vmcnt(0)
	v_and_b32_e32 v13, s5, v13
	v_and_b32_e32 v12, s4, v12
	v_cmp_gt_i64_e32 vcc, v[12:13], v[0:1]
	v_cndmask_b32_e64 v14, 0, 1, vcc
	v_cmp_le_i64_e32 vcc, v[0:1], v[12:13]
	v_cndmask_b32_e64 v12, 0, 1, vcc
	v_cndmask_b32_e64 v12, v12, v14, s[0:1]
	v_and_b32_e32 v12, 1, v12
	v_cmp_eq_u32_e32 vcc, 1, v12
	v_cndmask_b32_e32 v9, v4, v9, vcc
	v_cndmask_b32_e32 v8, v8, v11, vcc
	v_cmp_ge_u32_e32 vcc, v8, v9
	s_or_b64 s[2:3], vcc, s[2:3]
	s_andn2_b64 exec, exec, s[2:3]
	s_cbranch_execnz .LBB9_21
; %bb.22:
	s_or_b64 exec, exec, s[2:3]
.LBB9_23:
	v_add_u32_e32 v0, v8, v7
	v_mov_b32_e32 v1, 0
	v_lshlrev_b64 v[4:5], 3, v[0:1]
	v_mov_b32_e32 v1, s11
	v_add_co_u32_e32 v4, vcc, s10, v4
	v_addc_co_u32_e32 v5, vcc, v1, v5, vcc
	v_mov_b32_e32 v1, s15
	v_add_co_u32_e32 v0, vcc, s14, v0
	v_addc_co_u32_e32 v1, vcc, 0, v1, vcc
	s_mov_b64 s[6:7], -1
	s_waitcnt vmcnt(0)
	global_store_dwordx2 v[4:5], v[2:3], off
.LBB9_24:
	s_and_b64 exec, exec, s[6:7]
	s_cbranch_execz .LBB9_26
; %bb.25:
	s_waitcnt vmcnt(1)
	global_store_byte v[0:1], v6, off
.LBB9_26:
	s_endpgm
	.section	.rodata,"a",@progbits
	.p2align	6, 0x0
	.amdhsa_kernel _ZN7rocprim17ROCPRIM_304000_NS6detail33device_block_merge_oddeven_kernelINS1_37wrapped_merge_sort_block_merge_configINS0_14default_configElN2at4cuda3cub6detail10OpaqueTypeILi1EEEEEPlSC_PSA_SD_jNS1_19radix_merge_compareILb1ELb1ElNS0_19identity_decomposerEEEEEvT0_T1_T2_T3_T4_SL_T5_
		.amdhsa_group_segment_fixed_size 0
		.amdhsa_private_segment_fixed_size 0
		.amdhsa_kernarg_size 48
		.amdhsa_user_sgpr_count 6
		.amdhsa_user_sgpr_private_segment_buffer 1
		.amdhsa_user_sgpr_dispatch_ptr 0
		.amdhsa_user_sgpr_queue_ptr 0
		.amdhsa_user_sgpr_kernarg_segment_ptr 1
		.amdhsa_user_sgpr_dispatch_id 0
		.amdhsa_user_sgpr_flat_scratch_init 0
		.amdhsa_user_sgpr_kernarg_preload_length 0
		.amdhsa_user_sgpr_kernarg_preload_offset 0
		.amdhsa_user_sgpr_private_segment_size 0
		.amdhsa_uses_dynamic_stack 0
		.amdhsa_system_sgpr_private_segment_wavefront_offset 0
		.amdhsa_system_sgpr_workgroup_id_x 1
		.amdhsa_system_sgpr_workgroup_id_y 0
		.amdhsa_system_sgpr_workgroup_id_z 0
		.amdhsa_system_sgpr_workgroup_info 0
		.amdhsa_system_vgpr_workitem_id 0
		.amdhsa_next_free_vgpr 15
		.amdhsa_next_free_sgpr 24
		.amdhsa_accum_offset 16
		.amdhsa_reserve_vcc 1
		.amdhsa_reserve_flat_scratch 0
		.amdhsa_float_round_mode_32 0
		.amdhsa_float_round_mode_16_64 0
		.amdhsa_float_denorm_mode_32 3
		.amdhsa_float_denorm_mode_16_64 3
		.amdhsa_dx10_clamp 1
		.amdhsa_ieee_mode 1
		.amdhsa_fp16_overflow 0
		.amdhsa_tg_split 0
		.amdhsa_exception_fp_ieee_invalid_op 0
		.amdhsa_exception_fp_denorm_src 0
		.amdhsa_exception_fp_ieee_div_zero 0
		.amdhsa_exception_fp_ieee_overflow 0
		.amdhsa_exception_fp_ieee_underflow 0
		.amdhsa_exception_fp_ieee_inexact 0
		.amdhsa_exception_int_div_zero 0
	.end_amdhsa_kernel
	.section	.text._ZN7rocprim17ROCPRIM_304000_NS6detail33device_block_merge_oddeven_kernelINS1_37wrapped_merge_sort_block_merge_configINS0_14default_configElN2at4cuda3cub6detail10OpaqueTypeILi1EEEEEPlSC_PSA_SD_jNS1_19radix_merge_compareILb1ELb1ElNS0_19identity_decomposerEEEEEvT0_T1_T2_T3_T4_SL_T5_,"axG",@progbits,_ZN7rocprim17ROCPRIM_304000_NS6detail33device_block_merge_oddeven_kernelINS1_37wrapped_merge_sort_block_merge_configINS0_14default_configElN2at4cuda3cub6detail10OpaqueTypeILi1EEEEEPlSC_PSA_SD_jNS1_19radix_merge_compareILb1ELb1ElNS0_19identity_decomposerEEEEEvT0_T1_T2_T3_T4_SL_T5_,comdat
.Lfunc_end9:
	.size	_ZN7rocprim17ROCPRIM_304000_NS6detail33device_block_merge_oddeven_kernelINS1_37wrapped_merge_sort_block_merge_configINS0_14default_configElN2at4cuda3cub6detail10OpaqueTypeILi1EEEEEPlSC_PSA_SD_jNS1_19radix_merge_compareILb1ELb1ElNS0_19identity_decomposerEEEEEvT0_T1_T2_T3_T4_SL_T5_, .Lfunc_end9-_ZN7rocprim17ROCPRIM_304000_NS6detail33device_block_merge_oddeven_kernelINS1_37wrapped_merge_sort_block_merge_configINS0_14default_configElN2at4cuda3cub6detail10OpaqueTypeILi1EEEEEPlSC_PSA_SD_jNS1_19radix_merge_compareILb1ELb1ElNS0_19identity_decomposerEEEEEvT0_T1_T2_T3_T4_SL_T5_
                                        ; -- End function
	.section	.AMDGPU.csdata,"",@progbits
; Kernel info:
; codeLenInByte = 864
; NumSgprs: 28
; NumVgprs: 15
; NumAgprs: 0
; TotalNumVgprs: 15
; ScratchSize: 0
; MemoryBound: 0
; FloatMode: 240
; IeeeMode: 1
; LDSByteSize: 0 bytes/workgroup (compile time only)
; SGPRBlocks: 3
; VGPRBlocks: 1
; NumSGPRsForWavesPerEU: 28
; NumVGPRsForWavesPerEU: 15
; AccumOffset: 16
; Occupancy: 8
; WaveLimiterHint : 0
; COMPUTE_PGM_RSRC2:SCRATCH_EN: 0
; COMPUTE_PGM_RSRC2:USER_SGPR: 6
; COMPUTE_PGM_RSRC2:TRAP_HANDLER: 0
; COMPUTE_PGM_RSRC2:TGID_X_EN: 1
; COMPUTE_PGM_RSRC2:TGID_Y_EN: 0
; COMPUTE_PGM_RSRC2:TGID_Z_EN: 0
; COMPUTE_PGM_RSRC2:TIDIG_COMP_CNT: 0
; COMPUTE_PGM_RSRC3_GFX90A:ACCUM_OFFSET: 3
; COMPUTE_PGM_RSRC3_GFX90A:TG_SPLIT: 0
	.section	.text._ZN7rocprim17ROCPRIM_304000_NS6detail26onesweep_histograms_kernelINS1_34wrapped_radix_sort_onesweep_configINS0_14default_configElN2at4cuda3cub6detail10OpaqueTypeILi1EEEEELb1EPKlmNS0_19identity_decomposerEEEvT1_PT2_SG_SG_T3_jj,"axG",@progbits,_ZN7rocprim17ROCPRIM_304000_NS6detail26onesweep_histograms_kernelINS1_34wrapped_radix_sort_onesweep_configINS0_14default_configElN2at4cuda3cub6detail10OpaqueTypeILi1EEEEELb1EPKlmNS0_19identity_decomposerEEEvT1_PT2_SG_SG_T3_jj,comdat
	.protected	_ZN7rocprim17ROCPRIM_304000_NS6detail26onesweep_histograms_kernelINS1_34wrapped_radix_sort_onesweep_configINS0_14default_configElN2at4cuda3cub6detail10OpaqueTypeILi1EEEEELb1EPKlmNS0_19identity_decomposerEEEvT1_PT2_SG_SG_T3_jj ; -- Begin function _ZN7rocprim17ROCPRIM_304000_NS6detail26onesweep_histograms_kernelINS1_34wrapped_radix_sort_onesweep_configINS0_14default_configElN2at4cuda3cub6detail10OpaqueTypeILi1EEEEELb1EPKlmNS0_19identity_decomposerEEEvT1_PT2_SG_SG_T3_jj
	.globl	_ZN7rocprim17ROCPRIM_304000_NS6detail26onesweep_histograms_kernelINS1_34wrapped_radix_sort_onesweep_configINS0_14default_configElN2at4cuda3cub6detail10OpaqueTypeILi1EEEEELb1EPKlmNS0_19identity_decomposerEEEvT1_PT2_SG_SG_T3_jj
	.p2align	8
	.type	_ZN7rocprim17ROCPRIM_304000_NS6detail26onesweep_histograms_kernelINS1_34wrapped_radix_sort_onesweep_configINS0_14default_configElN2at4cuda3cub6detail10OpaqueTypeILi1EEEEELb1EPKlmNS0_19identity_decomposerEEEvT1_PT2_SG_SG_T3_jj,@function
_ZN7rocprim17ROCPRIM_304000_NS6detail26onesweep_histograms_kernelINS1_34wrapped_radix_sort_onesweep_configINS0_14default_configElN2at4cuda3cub6detail10OpaqueTypeILi1EEEEELb1EPKlmNS0_19identity_decomposerEEEvT1_PT2_SG_SG_T3_jj: ; @_ZN7rocprim17ROCPRIM_304000_NS6detail26onesweep_histograms_kernelINS1_34wrapped_radix_sort_onesweep_configINS0_14default_configElN2at4cuda3cub6detail10OpaqueTypeILi1EEEEELb1EPKlmNS0_19identity_decomposerEEEvT1_PT2_SG_SG_T3_jj
; %bb.0:
	s_load_dwordx8 s[24:31], s[4:5], 0x0
	s_load_dwordx2 s[34:35], s[4:5], 0x24
	s_mov_b32 s7, 0
	s_mul_i32 s1, s6, 0x6000
	s_mul_hi_u32 s0, s6, 0x6000
	s_waitcnt lgkmcnt(0)
	v_pk_mov_b32 v[2:3], s[30:31], s[30:31] op_sel:[0,1]
	v_cmp_ge_u64_e32 vcc, s[6:7], v[2:3]
	s_add_u32 s24, s24, s1
	s_addc_u32 s25, s25, s0
	s_mov_b64 s[0:1], -1
	v_lshlrev_b32_e32 v1, 3, v0
	s_cbranch_vccz .LBB10_82
; %bb.1:
	s_mul_i32 s0, s30, 0xfffff400
	s_add_i32 s28, s0, s28
	v_mov_b32_e32 v2, s25
	v_add_co_u32_e32 v26, vcc, s24, v1
	v_addc_co_u32_e32 v27, vcc, 0, v2, vcc
	v_cmp_gt_u32_e64 s[22:23], s28, v0
                                        ; implicit-def: $vgpr24_vgpr25
	s_and_saveexec_b64 s[0:1], s[22:23]
	s_cbranch_execz .LBB10_3
; %bb.2:
	global_load_dwordx2 v[24:25], v[26:27], off
.LBB10_3:
	s_or_b64 exec, exec, s[0:1]
	v_or_b32_e32 v2, 0x100, v0
	v_cmp_gt_u32_e64 s[20:21], s28, v2
                                        ; implicit-def: $vgpr22_vgpr23
	s_and_saveexec_b64 s[0:1], s[20:21]
	s_cbranch_execz .LBB10_5
; %bb.4:
	global_load_dwordx2 v[22:23], v[26:27], off offset:2048
.LBB10_5:
	s_or_b64 exec, exec, s[0:1]
	v_or_b32_e32 v2, 0x200, v0
	v_cmp_gt_u32_e64 s[18:19], s28, v2
                                        ; implicit-def: $vgpr20_vgpr21
	s_and_saveexec_b64 s[0:1], s[18:19]
	s_cbranch_execz .LBB10_7
; %bb.6:
	v_add_co_u32_e32 v2, vcc, 0x1000, v26
	v_addc_co_u32_e32 v3, vcc, 0, v27, vcc
	global_load_dwordx2 v[20:21], v[2:3], off
.LBB10_7:
	s_or_b64 exec, exec, s[0:1]
	v_or_b32_e32 v2, 0x300, v0
	v_cmp_gt_u32_e64 s[16:17], s28, v2
                                        ; implicit-def: $vgpr18_vgpr19
	s_and_saveexec_b64 s[0:1], s[16:17]
	s_cbranch_execz .LBB10_9
; %bb.8:
	v_add_co_u32_e32 v2, vcc, 0x1000, v26
	v_addc_co_u32_e32 v3, vcc, 0, v27, vcc
	global_load_dwordx2 v[18:19], v[2:3], off offset:2048
.LBB10_9:
	s_or_b64 exec, exec, s[0:1]
	v_or_b32_e32 v2, 0x400, v0
	v_cmp_gt_u32_e64 s[14:15], s28, v2
                                        ; implicit-def: $vgpr16_vgpr17
	s_and_saveexec_b64 s[0:1], s[14:15]
	s_cbranch_execz .LBB10_11
; %bb.10:
	v_add_co_u32_e32 v2, vcc, 0x2000, v26
	v_addc_co_u32_e32 v3, vcc, 0, v27, vcc
	global_load_dwordx2 v[16:17], v[2:3], off
.LBB10_11:
	s_or_b64 exec, exec, s[0:1]
	v_or_b32_e32 v2, 0x500, v0
	v_cmp_gt_u32_e64 s[12:13], s28, v2
                                        ; implicit-def: $vgpr14_vgpr15
	s_and_saveexec_b64 s[0:1], s[12:13]
	s_cbranch_execz .LBB10_13
; %bb.12:
	v_add_co_u32_e32 v2, vcc, 0x2000, v26
	v_addc_co_u32_e32 v3, vcc, 0, v27, vcc
	global_load_dwordx2 v[2:3], v[2:3], off offset:2048
	s_waitcnt vmcnt(0)
	v_xor_b32_e32 v15, 0x7fffffff, v3
	v_not_b32_e32 v14, v2
.LBB10_13:
	s_or_b64 exec, exec, s[0:1]
	v_or_b32_e32 v2, 0x600, v0
	v_cmp_gt_u32_e64 s[10:11], s28, v2
                                        ; implicit-def: $vgpr12_vgpr13
	s_and_saveexec_b64 s[0:1], s[10:11]
	s_cbranch_execz .LBB10_15
; %bb.14:
	v_add_co_u32_e32 v2, vcc, 0x3000, v26
	v_addc_co_u32_e32 v3, vcc, 0, v27, vcc
	global_load_dwordx2 v[2:3], v[2:3], off
	s_waitcnt vmcnt(0)
	v_xor_b32_e32 v13, 0x7fffffff, v3
	v_not_b32_e32 v12, v2
.LBB10_15:
	s_or_b64 exec, exec, s[0:1]
	v_or_b32_e32 v2, 0x700, v0
	v_cmp_gt_u32_e64 s[8:9], s28, v2
                                        ; implicit-def: $vgpr10_vgpr11
	s_and_saveexec_b64 s[0:1], s[8:9]
	s_cbranch_execz .LBB10_17
; %bb.16:
	v_add_co_u32_e32 v2, vcc, 0x3000, v26
	v_addc_co_u32_e32 v3, vcc, 0, v27, vcc
	global_load_dwordx2 v[2:3], v[2:3], off offset:2048
	s_waitcnt vmcnt(0)
	v_xor_b32_e32 v11, 0x7fffffff, v3
	v_not_b32_e32 v10, v2
.LBB10_17:
	s_or_b64 exec, exec, s[0:1]
	v_or_b32_e32 v2, 0x800, v0
	v_cmp_gt_u32_e64 s[6:7], s28, v2
                                        ; implicit-def: $vgpr8_vgpr9
	s_and_saveexec_b64 s[0:1], s[6:7]
	s_cbranch_execz .LBB10_19
; %bb.18:
	v_add_co_u32_e32 v2, vcc, 0x4000, v26
	v_addc_co_u32_e32 v3, vcc, 0, v27, vcc
	global_load_dwordx2 v[2:3], v[2:3], off
	s_waitcnt vmcnt(0)
	v_xor_b32_e32 v9, 0x7fffffff, v3
	v_not_b32_e32 v8, v2
.LBB10_19:
	s_or_b64 exec, exec, s[0:1]
	v_or_b32_e32 v2, 0x900, v0
	v_cmp_gt_u32_e64 s[4:5], s28, v2
                                        ; implicit-def: $vgpr6_vgpr7
	s_and_saveexec_b64 s[0:1], s[4:5]
	s_cbranch_execz .LBB10_21
; %bb.20:
	v_add_co_u32_e32 v2, vcc, 0x4000, v26
	v_addc_co_u32_e32 v3, vcc, 0, v27, vcc
	global_load_dwordx2 v[2:3], v[2:3], off offset:2048
	s_waitcnt vmcnt(0)
	v_xor_b32_e32 v7, 0x7fffffff, v3
	v_not_b32_e32 v6, v2
.LBB10_21:
	s_or_b64 exec, exec, s[0:1]
	v_or_b32_e32 v2, 0xa00, v0
	v_cmp_gt_u32_e64 s[2:3], s28, v2
                                        ; implicit-def: $vgpr4_vgpr5
	s_and_saveexec_b64 s[0:1], s[2:3]
	s_cbranch_execz .LBB10_23
; %bb.22:
	v_add_co_u32_e32 v2, vcc, 0x5000, v26
	v_addc_co_u32_e32 v3, vcc, 0, v27, vcc
	global_load_dwordx2 v[2:3], v[2:3], off
	s_waitcnt vmcnt(0)
	v_xor_b32_e32 v5, 0x7fffffff, v3
	v_not_b32_e32 v4, v2
.LBB10_23:
	s_or_b64 exec, exec, s[0:1]
	v_or_b32_e32 v2, 0xb00, v0
	v_cmp_gt_u32_e64 s[0:1], s28, v2
                                        ; implicit-def: $vgpr2_vgpr3
	s_and_saveexec_b64 s[28:29], s[0:1]
	s_cbranch_execz .LBB10_25
; %bb.24:
	v_add_co_u32_e32 v2, vcc, 0x5000, v26
	v_addc_co_u32_e32 v3, vcc, 0, v27, vcc
	global_load_dwordx2 v[2:3], v[2:3], off offset:2048
	s_waitcnt vmcnt(0)
	v_xor_b32_e32 v3, 0x7fffffff, v3
	v_not_b32_e32 v2, v2
.LBB10_25:
	s_or_b64 exec, exec, s[28:29]
	v_or_b32_e32 v26, 0xffffff00, v0
	v_lshlrev_b32_e32 v27, 2, v0
	s_mov_b64 s[28:29], 0
	v_mov_b32_e32 v28, 0
	s_movk_i32 s30, 0x1eff
.LBB10_26:                              ; =>This Inner Loop Header: Depth=1
	v_add_u32_e32 v26, 0x100, v26
	v_cmp_lt_u32_e32 vcc, s30, v26
	ds_write_b32 v27, v28
	s_or_b64 s[28:29], vcc, s[28:29]
	v_add_u32_e32 v27, 0x400, v27
	s_andn2_b64 exec, exec, s[28:29]
	s_cbranch_execnz .LBB10_26
; %bb.27:
	s_or_b64 exec, exec, s[28:29]
	s_cmp_gt_u32 s35, s34
	s_cselect_b64 s[28:29], -1, 0
	s_cmp_le_u32 s35, s34
	s_waitcnt lgkmcnt(0)
	s_barrier
	s_cbranch_scc1 .LBB10_76
; %bb.28:
	v_and_b32_e32 v26, 3, v0
	v_lshlrev_b32_e32 v26, 2, v26
	s_sub_i32 s33, s35, s34
	s_waitcnt vmcnt(0)
	v_xor_b32_e32 v25, 0x7fffffff, v25
	v_not_b32_e32 v24, v24
	v_mov_b32_e32 v27, 1
	s_mov_b32 s36, s33
	v_mov_b32_e32 v28, v26
	s_mov_b32 s37, s34
	s_branch .LBB10_30
.LBB10_29:                              ;   in Loop: Header=BB10_30 Depth=1
	s_or_b64 exec, exec, s[30:31]
	s_add_i32 s37, s37, 8
	s_add_i32 s36, s36, -8
	s_cmp_lt_u32 s37, s35
	v_add_u32_e32 v28, 0x1000, v28
	s_cbranch_scc0 .LBB10_32
.LBB10_30:                              ; =>This Inner Loop Header: Depth=1
	s_and_saveexec_b64 s[30:31], s[22:23]
	s_cbranch_execz .LBB10_29
; %bb.31:                               ;   in Loop: Header=BB10_30 Depth=1
	s_min_u32 s38, s36, 8
	v_lshrrev_b64 v[30:31], s37, v[24:25]
	v_bfe_u32 v29, v30, 0, s38
	v_lshl_add_u32 v29, v29, 4, v28
	ds_add_u32 v29, v27
	s_branch .LBB10_29
.LBB10_32:
	v_xor_b32_e32 v23, 0x7fffffff, v23
	v_not_b32_e32 v22, v22
	v_mov_b32_e32 v24, 1
	s_mov_b32 s30, s33
	v_mov_b32_e32 v25, v26
	s_mov_b32 s31, s34
	s_branch .LBB10_34
.LBB10_33:                              ;   in Loop: Header=BB10_34 Depth=1
	s_or_b64 exec, exec, s[22:23]
	s_add_i32 s31, s31, 8
	s_add_i32 s30, s30, -8
	s_cmp_lt_u32 s31, s35
	v_add_u32_e32 v25, 0x1000, v25
	s_cbranch_scc0 .LBB10_36
.LBB10_34:                              ; =>This Inner Loop Header: Depth=1
	s_and_saveexec_b64 s[22:23], s[20:21]
	s_cbranch_execz .LBB10_33
; %bb.35:                               ;   in Loop: Header=BB10_34 Depth=1
	s_min_u32 s36, s30, 8
	v_lshrrev_b64 v[28:29], s31, v[22:23]
	v_bfe_u32 v27, v28, 0, s36
	v_lshl_add_u32 v27, v27, 4, v25
	ds_add_u32 v27, v24
	s_branch .LBB10_33
.LBB10_36:
	v_xor_b32_e32 v21, 0x7fffffff, v21
	v_not_b32_e32 v20, v20
	v_mov_b32_e32 v22, 1
	s_mov_b32 s22, s33
	v_mov_b32_e32 v23, v26
	s_mov_b32 s23, s34
	s_branch .LBB10_38
.LBB10_37:                              ;   in Loop: Header=BB10_38 Depth=1
	s_or_b64 exec, exec, s[20:21]
	s_add_i32 s23, s23, 8
	s_add_i32 s22, s22, -8
	s_cmp_lt_u32 s23, s35
	v_add_u32_e32 v23, 0x1000, v23
	s_cbranch_scc0 .LBB10_40
.LBB10_38:                              ; =>This Inner Loop Header: Depth=1
	s_and_saveexec_b64 s[20:21], s[18:19]
	s_cbranch_execz .LBB10_37
; %bb.39:                               ;   in Loop: Header=BB10_38 Depth=1
	s_min_u32 s30, s22, 8
	v_lshrrev_b64 v[24:25], s23, v[20:21]
	v_bfe_u32 v24, v24, 0, s30
	v_lshl_add_u32 v24, v24, 4, v23
	ds_add_u32 v24, v22
	s_branch .LBB10_37
.LBB10_40:
	v_xor_b32_e32 v19, 0x7fffffff, v19
	v_not_b32_e32 v18, v18
	v_mov_b32_e32 v20, 1
	s_mov_b32 s20, s33
	v_mov_b32_e32 v21, v26
	s_mov_b32 s21, s34
	s_branch .LBB10_42
.LBB10_41:                              ;   in Loop: Header=BB10_42 Depth=1
	s_or_b64 exec, exec, s[18:19]
	s_add_i32 s21, s21, 8
	s_add_i32 s20, s20, -8
	s_cmp_lt_u32 s21, s35
	v_add_u32_e32 v21, 0x1000, v21
	s_cbranch_scc0 .LBB10_44
.LBB10_42:                              ; =>This Inner Loop Header: Depth=1
	s_and_saveexec_b64 s[18:19], s[16:17]
	s_cbranch_execz .LBB10_41
; %bb.43:                               ;   in Loop: Header=BB10_42 Depth=1
	s_min_u32 s22, s20, 8
	v_lshrrev_b64 v[22:23], s21, v[18:19]
	v_bfe_u32 v22, v22, 0, s22
	v_lshl_add_u32 v22, v22, 4, v21
	ds_add_u32 v22, v20
	s_branch .LBB10_41
.LBB10_44:
	v_xor_b32_e32 v17, 0x7fffffff, v17
	v_not_b32_e32 v16, v16
	v_mov_b32_e32 v18, 1
	s_mov_b32 s18, s33
	v_mov_b32_e32 v19, v26
	s_mov_b32 s19, s34
	s_branch .LBB10_46
.LBB10_45:                              ;   in Loop: Header=BB10_46 Depth=1
	s_or_b64 exec, exec, s[16:17]
	s_add_i32 s19, s19, 8
	s_add_i32 s18, s18, -8
	s_cmp_lt_u32 s19, s35
	v_add_u32_e32 v19, 0x1000, v19
	s_cbranch_scc0 .LBB10_48
.LBB10_46:                              ; =>This Inner Loop Header: Depth=1
	s_and_saveexec_b64 s[16:17], s[14:15]
	s_cbranch_execz .LBB10_45
; %bb.47:                               ;   in Loop: Header=BB10_46 Depth=1
	s_min_u32 s20, s18, 8
	v_lshrrev_b64 v[20:21], s19, v[16:17]
	v_bfe_u32 v20, v20, 0, s20
	v_lshl_add_u32 v20, v20, 4, v19
	ds_add_u32 v20, v18
	s_branch .LBB10_45
.LBB10_48:
	v_mov_b32_e32 v16, 1
	s_mov_b32 s16, s33
	v_mov_b32_e32 v17, v26
	s_mov_b32 s17, s34
	s_branch .LBB10_50
.LBB10_49:                              ;   in Loop: Header=BB10_50 Depth=1
	s_or_b64 exec, exec, s[14:15]
	s_add_i32 s17, s17, 8
	s_add_i32 s16, s16, -8
	s_cmp_lt_u32 s17, s35
	v_add_u32_e32 v17, 0x1000, v17
	s_cbranch_scc0 .LBB10_52
.LBB10_50:                              ; =>This Inner Loop Header: Depth=1
	s_and_saveexec_b64 s[14:15], s[12:13]
	s_cbranch_execz .LBB10_49
; %bb.51:                               ;   in Loop: Header=BB10_50 Depth=1
	s_min_u32 s18, s16, 8
	v_lshrrev_b64 v[18:19], s17, v[14:15]
	v_bfe_u32 v18, v18, 0, s18
	v_lshl_add_u32 v18, v18, 4, v17
	ds_add_u32 v18, v16
	s_branch .LBB10_49
.LBB10_52:
	v_mov_b32_e32 v14, 1
	s_mov_b32 s14, s33
	v_mov_b32_e32 v15, v26
	s_mov_b32 s15, s34
	s_branch .LBB10_54
.LBB10_53:                              ;   in Loop: Header=BB10_54 Depth=1
	s_or_b64 exec, exec, s[12:13]
	s_add_i32 s15, s15, 8
	s_add_i32 s14, s14, -8
	s_cmp_lt_u32 s15, s35
	v_add_u32_e32 v15, 0x1000, v15
	s_cbranch_scc0 .LBB10_56
.LBB10_54:                              ; =>This Inner Loop Header: Depth=1
	s_and_saveexec_b64 s[12:13], s[10:11]
	s_cbranch_execz .LBB10_53
; %bb.55:                               ;   in Loop: Header=BB10_54 Depth=1
	s_min_u32 s16, s14, 8
	v_lshrrev_b64 v[16:17], s15, v[12:13]
	v_bfe_u32 v16, v16, 0, s16
	v_lshl_add_u32 v16, v16, 4, v15
	ds_add_u32 v16, v14
	s_branch .LBB10_53
.LBB10_56:
	;; [unrolled: 23-line block ×6, first 2 shown]
	v_mov_b32_e32 v4, 1
	s_mov_b32 s4, s34
	s_branch .LBB10_74
.LBB10_73:                              ;   in Loop: Header=BB10_74 Depth=1
	s_or_b64 exec, exec, s[2:3]
	s_add_i32 s4, s4, 8
	s_add_i32 s33, s33, -8
	s_cmp_lt_u32 s4, s35
	v_add_u32_e32 v26, 0x1000, v26
	s_cbranch_scc0 .LBB10_76
.LBB10_74:                              ; =>This Inner Loop Header: Depth=1
	s_and_saveexec_b64 s[2:3], s[0:1]
	s_cbranch_execz .LBB10_73
; %bb.75:                               ;   in Loop: Header=BB10_74 Depth=1
	s_min_u32 s5, s33, 8
	v_lshrrev_b64 v[6:7], s4, v[2:3]
	v_bfe_u32 v5, v6, 0, s5
	v_lshl_add_u32 v5, v5, 4, v26
	ds_add_u32 v5, v4
	s_branch .LBB10_73
.LBB10_76:
	s_and_b64 vcc, exec, s[28:29]
	s_waitcnt lgkmcnt(0)
	s_barrier
	s_cbranch_vccz .LBB10_81
; %bb.77:
	s_movk_i32 s0, 0x100
	v_cmp_gt_u32_e32 vcc, s0, v0
	v_lshlrev_b32_e32 v4, 4, v0
	v_mov_b32_e32 v3, 0
	v_mov_b32_e32 v2, v0
	s_mov_b32 s4, s34
	s_branch .LBB10_79
.LBB10_78:                              ;   in Loop: Header=BB10_79 Depth=1
	s_or_b64 exec, exec, s[2:3]
	s_add_i32 s4, s4, 8
	v_add_u32_e32 v2, 0x100, v2
	s_cmp_lt_u32 s4, s35
	v_add_u32_e32 v4, 0x1000, v4
	s_cbranch_scc0 .LBB10_81
.LBB10_79:                              ; =>This Inner Loop Header: Depth=1
	s_and_saveexec_b64 s[2:3], vcc
	s_cbranch_execz .LBB10_78
; %bb.80:                               ;   in Loop: Header=BB10_79 Depth=1
	ds_read2_b32 v[6:7], v4 offset1:1
	ds_read2_b32 v[8:9], v4 offset0:2 offset1:3
	v_lshlrev_b64 v[10:11], 3, v[2:3]
	v_mov_b32_e32 v5, s27
	s_waitcnt lgkmcnt(1)
	v_add_u32_e32 v6, v7, v6
	s_waitcnt lgkmcnt(0)
	v_add3_u32 v6, v6, v8, v9
	v_add_co_u32_e64 v8, s[0:1], s26, v10
	v_addc_co_u32_e64 v9, s[0:1], v5, v11, s[0:1]
	v_mov_b32_e32 v7, v3
	global_atomic_add_x2 v[8:9], v[6:7], off
	s_branch .LBB10_78
.LBB10_81:
	s_mov_b64 s[0:1], 0
.LBB10_82:
	s_and_b64 vcc, exec, s[0:1]
	s_cbranch_vccz .LBB10_122
; %bb.83:
	v_mov_b32_e32 v2, s25
	s_waitcnt vmcnt(0)
	v_add_co_u32_e32 v24, vcc, s24, v1
	v_addc_co_u32_e32 v25, vcc, 0, v2, vcc
	v_add_co_u32_e32 v12, vcc, 0x1000, v24
	v_addc_co_u32_e32 v13, vcc, 0, v25, vcc
	;; [unrolled: 2-line block ×5, first 2 shown]
	v_add_co_u32_e32 v26, vcc, 0x5000, v24
	global_load_dwordx2 v[2:3], v1, s[24:25] offset:2048
	global_load_dwordx2 v[8:9], v[12:13], off
	global_load_dwordx2 v[4:5], v[12:13], off offset:2048
	global_load_dwordx2 v[10:11], v[14:15], off
	global_load_dwordx2 v[6:7], v[14:15], off offset:2048
	global_load_dwordx2 v[16:17], v[20:21], off
	s_nop 0
	global_load_dwordx2 v[12:13], v[20:21], off offset:2048
	global_load_dwordx2 v[18:19], v[22:23], off
	global_load_dwordx2 v[14:15], v[22:23], off offset:2048
	v_addc_co_u32_e32 v27, vcc, 0, v25, vcc
	global_load_dwordx2 v[20:21], v[26:27], off
	global_load_dwordx2 v[24:25], v1, s[24:25]
	global_load_dwordx2 v[22:23], v[26:27], off offset:2048
	s_cmp_eq_u32 s34, 0
	s_cselect_b64 s[0:1], -1, 0
	s_cmp_eq_u32 s35, 64
	s_cselect_b64 s[2:3], -1, 0
	s_and_b64 s[2:3], s[0:1], s[2:3]
	s_mov_b64 s[0:1], -1
	s_and_b64 vcc, exec, s[2:3]
	v_lshlrev_b32_e32 v28, 2, v0
	s_cbranch_vccnz .LBB10_117
; %bb.84:
	v_or_b32_e32 v26, 0xffffff00, v0
	v_lshlrev_b32_e32 v27, 2, v0
	s_mov_b64 s[0:1], 0
	v_mov_b32_e32 v29, 0
	s_movk_i32 s2, 0x1eff
.LBB10_85:                              ; =>This Inner Loop Header: Depth=1
	v_add_u32_e32 v26, 0x100, v26
	v_cmp_lt_u32_e32 vcc, s2, v26
	ds_write_b32 v27, v29
	s_or_b64 s[0:1], vcc, s[0:1]
	v_add_u32_e32 v27, 0x400, v27
	s_andn2_b64 exec, exec, s[0:1]
	s_cbranch_execnz .LBB10_85
; %bb.86:
	s_or_b64 exec, exec, s[0:1]
	s_cmp_gt_u32 s35, s34
	s_cselect_b64 s[0:1], -1, 0
	s_cmp_le_u32 s35, s34
	s_waitcnt lgkmcnt(0)
	s_barrier
	s_cbranch_scc1 .LBB10_111
; %bb.87:
	v_and_b32_e32 v29, 3, v0
	v_lshlrev_b32_e32 v29, 2, v29
	s_sub_i32 s2, s35, s34
	s_waitcnt vmcnt(1)
	v_xor_b32_e32 v27, 0x7fffffff, v25
	v_not_b32_e32 v26, v24
	v_mov_b32_e32 v30, 1
	s_mov_b32 s3, s2
	v_mov_b32_e32 v31, v29
	s_mov_b32 s4, s34
.LBB10_88:                              ; =>This Inner Loop Header: Depth=1
	s_min_u32 s5, s3, 8
	v_lshrrev_b64 v[32:33], s4, v[26:27]
	v_bfe_u32 v32, v32, 0, s5
	v_lshl_add_u32 v32, v32, 4, v31
	ds_add_u32 v32, v30
	s_add_i32 s4, s4, 8
	s_add_i32 s3, s3, -8
	s_cmp_lt_u32 s4, s35
	v_add_u32_e32 v31, 0x1000, v31
	s_cbranch_scc1 .LBB10_88
; %bb.89:
	v_xor_b32_e32 v27, 0x7fffffff, v3
	v_not_b32_e32 v26, v2
	v_mov_b32_e32 v30, 1
	s_mov_b32 s3, s2
	v_mov_b32_e32 v31, v29
	s_mov_b32 s4, s34
.LBB10_90:                              ; =>This Inner Loop Header: Depth=1
	s_min_u32 s5, s3, 8
	v_lshrrev_b64 v[32:33], s4, v[26:27]
	v_bfe_u32 v32, v32, 0, s5
	v_lshl_add_u32 v32, v32, 4, v31
	ds_add_u32 v32, v30
	s_add_i32 s4, s4, 8
	s_add_i32 s3, s3, -8
	s_cmp_lt_u32 s4, s35
	v_add_u32_e32 v31, 0x1000, v31
	s_cbranch_scc1 .LBB10_90
; %bb.91:
	;; [unrolled: 18-line block ×6, first 2 shown]
	v_xor_b32_e32 v27, 0x7fffffff, v17
	v_not_b32_e32 v26, v16
	v_mov_b32_e32 v30, 1
	s_mov_b32 s3, s2
	v_mov_b32_e32 v31, v29
	s_mov_b32 s4, s34
.LBB10_100:                             ; =>This Inner Loop Header: Depth=1
	s_min_u32 s5, s3, 8
	v_lshrrev_b64 v[32:33], s4, v[26:27]
	v_bfe_u32 v32, v32, 0, s5
	v_lshl_add_u32 v32, v32, 4, v31
	ds_add_u32 v32, v30
	s_add_i32 s4, s4, 8
	s_add_i32 s3, s3, -8
	s_cmp_lt_u32 s4, s35
	v_add_u32_e32 v31, 0x1000, v31
	s_cbranch_scc1 .LBB10_100
; %bb.101:
	v_xor_b32_e32 v27, 0x7fffffff, v13
	v_not_b32_e32 v26, v12
	v_mov_b32_e32 v30, 1
	s_mov_b32 s3, s2
	v_mov_b32_e32 v31, v29
	s_mov_b32 s4, s34
.LBB10_102:                             ; =>This Inner Loop Header: Depth=1
	s_min_u32 s5, s3, 8
	v_lshrrev_b64 v[32:33], s4, v[26:27]
	v_bfe_u32 v32, v32, 0, s5
	v_lshl_add_u32 v32, v32, 4, v31
	ds_add_u32 v32, v30
	s_add_i32 s4, s4, 8
	s_add_i32 s3, s3, -8
	s_cmp_lt_u32 s4, s35
	v_add_u32_e32 v31, 0x1000, v31
	s_cbranch_scc1 .LBB10_102
; %bb.103:
	;; [unrolled: 18-line block ×5, first 2 shown]
	s_waitcnt vmcnt(0)
	v_xor_b32_e32 v27, 0x7fffffff, v23
	v_not_b32_e32 v26, v22
	v_mov_b32_e32 v30, 1
	s_mov_b32 s3, s34
.LBB10_110:                             ; =>This Inner Loop Header: Depth=1
	s_min_u32 s4, s2, 8
	v_lshrrev_b64 v[32:33], s3, v[26:27]
	v_bfe_u32 v31, v32, 0, s4
	v_lshl_add_u32 v31, v31, 4, v29
	ds_add_u32 v31, v30
	s_add_i32 s3, s3, 8
	s_add_i32 s2, s2, -8
	s_cmp_lt_u32 s3, s35
	v_add_u32_e32 v29, 0x1000, v29
	s_cbranch_scc1 .LBB10_110
.LBB10_111:
	s_and_b64 vcc, exec, s[0:1]
	s_waitcnt lgkmcnt(0)
	s_barrier
	s_cbranch_vccz .LBB10_116
; %bb.112:
	s_movk_i32 s0, 0x100
	v_cmp_gt_u32_e32 vcc, s0, v0
	v_lshlrev_b32_e32 v29, 4, v0
	v_mov_b32_e32 v27, 0
	v_mov_b32_e32 v26, v0
	s_branch .LBB10_114
.LBB10_113:                             ;   in Loop: Header=BB10_114 Depth=1
	s_or_b64 exec, exec, s[2:3]
	s_add_i32 s34, s34, 8
	v_add_u32_e32 v26, 0x100, v26
	s_cmp_ge_u32 s34, s35
	v_add_u32_e32 v29, 0x1000, v29
	s_cbranch_scc1 .LBB10_116
.LBB10_114:                             ; =>This Inner Loop Header: Depth=1
	s_and_saveexec_b64 s[2:3], vcc
	s_cbranch_execz .LBB10_113
; %bb.115:                              ;   in Loop: Header=BB10_114 Depth=1
	ds_read2_b32 v[30:31], v29 offset1:1
	ds_read2_b32 v[32:33], v29 offset0:2 offset1:3
	v_lshlrev_b64 v[34:35], 3, v[26:27]
	v_mov_b32_e32 v36, s27
	s_waitcnt lgkmcnt(1)
	v_add_u32_e32 v30, v31, v30
	s_waitcnt lgkmcnt(0)
	v_add3_u32 v30, v30, v32, v33
	v_add_co_u32_e64 v32, s[0:1], s26, v34
	v_addc_co_u32_e64 v33, s[0:1], v36, v35, s[0:1]
	v_mov_b32_e32 v31, v27
	global_atomic_add_x2 v[32:33], v[30:31], off
	s_branch .LBB10_113
.LBB10_116:
	s_mov_b64 s[0:1], 0
.LBB10_117:
	s_and_b64 vcc, exec, s[0:1]
	s_cbranch_vccz .LBB10_122
; %bb.118:
	v_or_b32_e32 v26, 0xffffff00, v0
	s_mov_b64 s[0:1], 0
	v_mov_b32_e32 v27, 0
	s_movk_i32 s2, 0x1eff
	v_mov_b32_e32 v29, v28
.LBB10_119:                             ; =>This Inner Loop Header: Depth=1
	v_add_u32_e32 v26, 0x100, v26
	v_cmp_lt_u32_e32 vcc, s2, v26
	ds_write_b32 v29, v27
	s_or_b64 s[0:1], vcc, s[0:1]
	v_add_u32_e32 v29, 0x400, v29
	s_andn2_b64 exec, exec, s[0:1]
	s_cbranch_execnz .LBB10_119
; %bb.120:
	s_or_b64 exec, exec, s[0:1]
	s_waitcnt vmcnt(1)
	v_xor_b32_e32 v24, -1, v24
	v_and_b32_e32 v26, 3, v0
	v_lshlrev_b32_e32 v27, 2, v24
	s_movk_i32 s0, 0x3fc
	v_and_or_b32 v27, v27, s0, v26
	v_lshlrev_b32_e32 v27, 2, v27
	v_mov_b32_e32 v29, 1
	s_waitcnt lgkmcnt(0)
	s_barrier
	ds_add_u32 v27, v29
	v_bfe_u32 v27, v24, 8, 8
	v_lshl_or_b32 v27, v27, 2, v26
	v_lshlrev_b32_e32 v27, 2, v27
	ds_add_u32 v27, v29 offset:4096
	v_bfe_u32 v27, v24, 16, 8
	v_lshl_or_b32 v27, v27, 2, v26
	v_lshlrev_b32_e32 v27, 2, v27
	v_xor_b32_e32 v25, 0x7fffffff, v25
	ds_add_u32 v27, v29 offset:8192
	v_lshrrev_b32_e32 v27, 24, v24
	v_lshl_or_b32 v27, v27, 2, v26
	v_alignbit_b32 v24, v25, v24, 30
	v_lshlrev_b32_e32 v27, 2, v27
	v_and_or_b32 v24, v24, s0, v26
	ds_add_u32 v27, v29 offset:12288
	v_lshlrev_b32_e32 v24, 2, v24
	ds_add_u32 v24, v29 offset:16384
	v_bfe_u32 v24, v25, 8, 8
	v_lshl_or_b32 v24, v24, 2, v26
	v_lshlrev_b32_e32 v24, 2, v24
	ds_add_u32 v24, v29 offset:20480
	v_bfe_u32 v24, v25, 16, 8
	v_lshl_or_b32 v24, v24, 2, v26
	v_lshlrev_b32_e32 v24, 2, v24
	ds_add_u32 v24, v29 offset:24576
	v_lshrrev_b32_e32 v24, 24, v25
	v_lshl_or_b32 v24, v24, 2, v26
	v_xor_b32_e32 v2, -1, v2
	v_lshlrev_b32_e32 v24, 2, v24
	ds_add_u32 v24, v29 offset:28672
	v_lshlrev_b32_e32 v24, 2, v2
	v_and_or_b32 v24, v24, s0, v26
	v_lshlrev_b32_e32 v24, 2, v24
	ds_add_u32 v24, v29
	v_bfe_u32 v24, v2, 8, 8
	v_lshl_or_b32 v24, v24, 2, v26
	v_lshlrev_b32_e32 v24, 2, v24
	ds_add_u32 v24, v29 offset:4096
	v_bfe_u32 v24, v2, 16, 8
	v_lshl_or_b32 v24, v24, 2, v26
	v_lshlrev_b32_e32 v24, 2, v24
	v_xor_b32_e32 v3, 0x7fffffff, v3
	ds_add_u32 v24, v29 offset:8192
	v_lshrrev_b32_e32 v24, 24, v2
	v_lshl_or_b32 v24, v24, 2, v26
	v_alignbit_b32 v2, v3, v2, 30
	v_lshlrev_b32_e32 v24, 2, v24
	v_and_or_b32 v2, v2, s0, v26
	ds_add_u32 v24, v29 offset:12288
	v_lshlrev_b32_e32 v2, 2, v2
	ds_add_u32 v2, v29 offset:16384
	v_bfe_u32 v2, v3, 8, 8
	v_lshl_or_b32 v2, v2, 2, v26
	v_lshlrev_b32_e32 v2, 2, v2
	ds_add_u32 v2, v29 offset:20480
	v_bfe_u32 v2, v3, 16, 8
	v_lshl_or_b32 v2, v2, 2, v26
	v_lshlrev_b32_e32 v2, 2, v2
	ds_add_u32 v2, v29 offset:24576
	v_lshrrev_b32_e32 v2, 24, v3
	v_lshl_or_b32 v2, v2, 2, v26
	v_xor_b32_e32 v8, -1, v8
	v_lshlrev_b32_e32 v2, 2, v2
	ds_add_u32 v2, v29 offset:28672
	v_lshlrev_b32_e32 v2, 2, v8
	v_and_or_b32 v2, v2, s0, v26
	v_lshlrev_b32_e32 v2, 2, v2
	ds_add_u32 v2, v29
	v_bfe_u32 v2, v8, 8, 8
	v_lshl_or_b32 v2, v2, 2, v26
	v_lshlrev_b32_e32 v2, 2, v2
	ds_add_u32 v2, v29 offset:4096
	v_bfe_u32 v2, v8, 16, 8
	v_lshl_or_b32 v2, v2, 2, v26
	v_lshlrev_b32_e32 v2, 2, v2
	ds_add_u32 v2, v29 offset:8192
	v_lshrrev_b32_e32 v2, 24, v8
	v_lshl_or_b32 v2, v2, 2, v26
	v_xor_b32_e32 v9, 0x7fffffff, v9
	v_lshlrev_b32_e32 v2, 2, v2
	ds_add_u32 v2, v29 offset:12288
	v_alignbit_b32 v2, v9, v8, 30
	v_and_or_b32 v2, v2, s0, v26
	v_lshlrev_b32_e32 v2, 2, v2
	ds_add_u32 v2, v29 offset:16384
	v_bfe_u32 v2, v9, 8, 8
	v_lshl_or_b32 v2, v2, 2, v26
	v_lshlrev_b32_e32 v2, 2, v2
	ds_add_u32 v2, v29 offset:20480
	v_bfe_u32 v2, v9, 16, 8
	v_lshl_or_b32 v2, v2, 2, v26
	v_lshlrev_b32_e32 v2, 2, v2
	ds_add_u32 v2, v29 offset:24576
	v_lshrrev_b32_e32 v2, 24, v9
	v_lshl_or_b32 v2, v2, 2, v26
	v_xor_b32_e32 v4, -1, v4
	v_lshlrev_b32_e32 v2, 2, v2
	ds_add_u32 v2, v29 offset:28672
	v_lshlrev_b32_e32 v2, 2, v4
	v_and_or_b32 v2, v2, s0, v26
	v_lshlrev_b32_e32 v2, 2, v2
	ds_add_u32 v2, v29
	v_bfe_u32 v2, v4, 8, 8
	v_lshl_or_b32 v2, v2, 2, v26
	v_lshlrev_b32_e32 v2, 2, v2
	ds_add_u32 v2, v29 offset:4096
	v_bfe_u32 v2, v4, 16, 8
	v_lshl_or_b32 v2, v2, 2, v26
	v_lshlrev_b32_e32 v2, 2, v2
	ds_add_u32 v2, v29 offset:8192
	v_lshrrev_b32_e32 v2, 24, v4
	v_lshl_or_b32 v2, v2, 2, v26
	v_xor_b32_e32 v5, 0x7fffffff, v5
	v_lshlrev_b32_e32 v2, 2, v2
	ds_add_u32 v2, v29 offset:12288
	v_alignbit_b32 v2, v5, v4, 30
	v_and_or_b32 v2, v2, s0, v26
	;; [unrolled: 34-line block ×9, first 2 shown]
	v_lshlrev_b32_e32 v2, 2, v2
	ds_add_u32 v2, v29 offset:16384
	v_bfe_u32 v2, v21, 8, 8
	v_lshl_or_b32 v2, v2, 2, v26
	v_lshlrev_b32_e32 v2, 2, v2
	ds_add_u32 v2, v29 offset:20480
	v_bfe_u32 v2, v21, 16, 8
	v_lshl_or_b32 v2, v2, 2, v26
	v_lshlrev_b32_e32 v2, 2, v2
	ds_add_u32 v2, v29 offset:24576
	v_lshrrev_b32_e32 v2, 24, v21
	v_lshl_or_b32 v2, v2, 2, v26
	s_waitcnt vmcnt(0)
	v_xor_b32_e32 v22, -1, v22
	v_lshlrev_b32_e32 v2, 2, v2
	ds_add_u32 v2, v29 offset:28672
	v_lshlrev_b32_e32 v2, 2, v22
	v_and_or_b32 v2, v2, s0, v26
	v_lshlrev_b32_e32 v2, 2, v2
	ds_add_u32 v2, v29
	v_bfe_u32 v2, v22, 8, 8
	v_lshl_or_b32 v2, v2, 2, v26
	v_lshlrev_b32_e32 v2, 2, v2
	ds_add_u32 v2, v29 offset:4096
	v_bfe_u32 v2, v22, 16, 8
	v_lshl_or_b32 v2, v2, 2, v26
	v_lshlrev_b32_e32 v2, 2, v2
	ds_add_u32 v2, v29 offset:8192
	v_lshrrev_b32_e32 v2, 24, v22
	v_lshl_or_b32 v2, v2, 2, v26
	v_xor_b32_e32 v23, 0x7fffffff, v23
	v_lshlrev_b32_e32 v2, 2, v2
	ds_add_u32 v2, v29 offset:12288
	v_alignbit_b32 v2, v23, v22, 30
	v_and_or_b32 v2, v2, s0, v26
	v_lshlrev_b32_e32 v2, 2, v2
	ds_add_u32 v2, v29 offset:16384
	v_bfe_u32 v2, v23, 8, 8
	v_lshl_or_b32 v2, v2, 2, v26
	v_lshlrev_b32_e32 v2, 2, v2
	ds_add_u32 v2, v29 offset:20480
	v_bfe_u32 v2, v23, 16, 8
	v_lshl_or_b32 v2, v2, 2, v26
	v_lshlrev_b32_e32 v2, 2, v2
	ds_add_u32 v2, v29 offset:24576
	v_lshrrev_b32_e32 v2, 24, v23
	v_lshl_or_b32 v2, v2, 2, v26
	v_lshlrev_b32_e32 v2, 2, v2
	ds_add_u32 v2, v29 offset:28672
	s_movk_i32 s0, 0x100
	v_cmp_gt_u32_e32 vcc, s0, v0
	s_waitcnt lgkmcnt(0)
	s_barrier
	s_and_saveexec_b64 s[0:1], vcc
	s_cbranch_execz .LBB10_122
; %bb.121:
	v_lshlrev_b32_e32 v0, 2, v28
	ds_read2_b32 v[2:3], v0 offset1:1
	ds_read2_b32 v[4:5], v0 offset0:2 offset1:3
	v_mov_b32_e32 v7, 0
	v_or_b32_e32 v8, 0x1000, v0
	v_add_u32_e32 v9, 0x1008, v0
	s_waitcnt lgkmcnt(1)
	v_add_u32_e32 v2, v3, v2
	s_waitcnt lgkmcnt(0)
	v_add3_u32 v6, v2, v4, v5
	global_atomic_add_x2 v1, v[6:7], s[26:27]
	ds_read2_b32 v[2:3], v8 offset1:1
	ds_read2_b32 v[4:5], v9 offset1:1
	v_or_b32_e32 v8, 0x2000, v0
	v_add_u32_e32 v9, 0x2008, v0
	v_add_u32_e32 v10, 0x3008, v0
	s_waitcnt lgkmcnt(1)
	v_add_u32_e32 v2, v3, v2
	s_waitcnt lgkmcnt(0)
	v_add3_u32 v6, v2, v4, v5
	global_atomic_add_x2 v1, v[6:7], s[26:27] offset:2048
	ds_read2_b32 v[2:3], v8 offset1:1
	ds_read2_b32 v[4:5], v9 offset1:1
	v_or_b32_e32 v8, 0x1000, v1
	v_or_b32_e32 v9, 0x3000, v0
	s_waitcnt lgkmcnt(1)
	v_add_u32_e32 v2, v3, v2
	s_waitcnt lgkmcnt(0)
	v_add3_u32 v6, v2, v4, v5
	global_atomic_add_x2 v8, v[6:7], s[26:27]
	ds_read2_b32 v[2:3], v9 offset1:1
	ds_read2_b32 v[4:5], v10 offset1:1
	v_or_b32_e32 v8, 0x1800, v1
	v_or_b32_e32 v9, 0x4000, v0
	v_add_u32_e32 v10, 0x4008, v0
	s_waitcnt lgkmcnt(1)
	v_add_u32_e32 v2, v3, v2
	s_waitcnt lgkmcnt(0)
	v_add3_u32 v6, v2, v4, v5
	global_atomic_add_x2 v8, v[6:7], s[26:27]
	ds_read2_b32 v[2:3], v9 offset1:1
	ds_read2_b32 v[4:5], v10 offset1:1
	v_or_b32_e32 v8, 0x2000, v1
	v_or_b32_e32 v9, 0x5000, v0
	v_add_u32_e32 v10, 0x5008, v0
	;; [unrolled: 10-line block ×4, first 2 shown]
	s_waitcnt lgkmcnt(1)
	v_add_u32_e32 v2, v3, v2
	s_waitcnt lgkmcnt(0)
	v_add3_u32 v6, v2, v4, v5
	global_atomic_add_x2 v8, v[6:7], s[26:27]
	ds_read2_b32 v[2:3], v9 offset1:1
	ds_read2_b32 v[4:5], v0 offset1:1
	s_waitcnt lgkmcnt(1)
	v_add_u32_e32 v0, v3, v2
	s_waitcnt lgkmcnt(0)
	v_add3_u32 v6, v0, v4, v5
	v_or_b32_e32 v0, 0x3800, v1
	global_atomic_add_x2 v0, v[6:7], s[26:27]
.LBB10_122:
	s_endpgm
	.section	.rodata,"a",@progbits
	.p2align	6, 0x0
	.amdhsa_kernel _ZN7rocprim17ROCPRIM_304000_NS6detail26onesweep_histograms_kernelINS1_34wrapped_radix_sort_onesweep_configINS0_14default_configElN2at4cuda3cub6detail10OpaqueTypeILi1EEEEELb1EPKlmNS0_19identity_decomposerEEEvT1_PT2_SG_SG_T3_jj
		.amdhsa_group_segment_fixed_size 32768
		.amdhsa_private_segment_fixed_size 0
		.amdhsa_kernarg_size 44
		.amdhsa_user_sgpr_count 6
		.amdhsa_user_sgpr_private_segment_buffer 1
		.amdhsa_user_sgpr_dispatch_ptr 0
		.amdhsa_user_sgpr_queue_ptr 0
		.amdhsa_user_sgpr_kernarg_segment_ptr 1
		.amdhsa_user_sgpr_dispatch_id 0
		.amdhsa_user_sgpr_flat_scratch_init 0
		.amdhsa_user_sgpr_kernarg_preload_length 0
		.amdhsa_user_sgpr_kernarg_preload_offset 0
		.amdhsa_user_sgpr_private_segment_size 0
		.amdhsa_uses_dynamic_stack 0
		.amdhsa_system_sgpr_private_segment_wavefront_offset 0
		.amdhsa_system_sgpr_workgroup_id_x 1
		.amdhsa_system_sgpr_workgroup_id_y 0
		.amdhsa_system_sgpr_workgroup_id_z 0
		.amdhsa_system_sgpr_workgroup_info 0
		.amdhsa_system_vgpr_workitem_id 0
		.amdhsa_next_free_vgpr 37
		.amdhsa_next_free_sgpr 39
		.amdhsa_accum_offset 40
		.amdhsa_reserve_vcc 1
		.amdhsa_reserve_flat_scratch 0
		.amdhsa_float_round_mode_32 0
		.amdhsa_float_round_mode_16_64 0
		.amdhsa_float_denorm_mode_32 3
		.amdhsa_float_denorm_mode_16_64 3
		.amdhsa_dx10_clamp 1
		.amdhsa_ieee_mode 1
		.amdhsa_fp16_overflow 0
		.amdhsa_tg_split 0
		.amdhsa_exception_fp_ieee_invalid_op 0
		.amdhsa_exception_fp_denorm_src 0
		.amdhsa_exception_fp_ieee_div_zero 0
		.amdhsa_exception_fp_ieee_overflow 0
		.amdhsa_exception_fp_ieee_underflow 0
		.amdhsa_exception_fp_ieee_inexact 0
		.amdhsa_exception_int_div_zero 0
	.end_amdhsa_kernel
	.section	.text._ZN7rocprim17ROCPRIM_304000_NS6detail26onesweep_histograms_kernelINS1_34wrapped_radix_sort_onesweep_configINS0_14default_configElN2at4cuda3cub6detail10OpaqueTypeILi1EEEEELb1EPKlmNS0_19identity_decomposerEEEvT1_PT2_SG_SG_T3_jj,"axG",@progbits,_ZN7rocprim17ROCPRIM_304000_NS6detail26onesweep_histograms_kernelINS1_34wrapped_radix_sort_onesweep_configINS0_14default_configElN2at4cuda3cub6detail10OpaqueTypeILi1EEEEELb1EPKlmNS0_19identity_decomposerEEEvT1_PT2_SG_SG_T3_jj,comdat
.Lfunc_end10:
	.size	_ZN7rocprim17ROCPRIM_304000_NS6detail26onesweep_histograms_kernelINS1_34wrapped_radix_sort_onesweep_configINS0_14default_configElN2at4cuda3cub6detail10OpaqueTypeILi1EEEEELb1EPKlmNS0_19identity_decomposerEEEvT1_PT2_SG_SG_T3_jj, .Lfunc_end10-_ZN7rocprim17ROCPRIM_304000_NS6detail26onesweep_histograms_kernelINS1_34wrapped_radix_sort_onesweep_configINS0_14default_configElN2at4cuda3cub6detail10OpaqueTypeILi1EEEEELb1EPKlmNS0_19identity_decomposerEEEvT1_PT2_SG_SG_T3_jj
                                        ; -- End function
	.section	.AMDGPU.csdata,"",@progbits
; Kernel info:
; codeLenInByte = 7116
; NumSgprs: 43
; NumVgprs: 37
; NumAgprs: 0
; TotalNumVgprs: 37
; ScratchSize: 0
; MemoryBound: 0
; FloatMode: 240
; IeeeMode: 1
; LDSByteSize: 32768 bytes/workgroup (compile time only)
; SGPRBlocks: 5
; VGPRBlocks: 4
; NumSGPRsForWavesPerEU: 43
; NumVGPRsForWavesPerEU: 37
; AccumOffset: 40
; Occupancy: 2
; WaveLimiterHint : 1
; COMPUTE_PGM_RSRC2:SCRATCH_EN: 0
; COMPUTE_PGM_RSRC2:USER_SGPR: 6
; COMPUTE_PGM_RSRC2:TRAP_HANDLER: 0
; COMPUTE_PGM_RSRC2:TGID_X_EN: 1
; COMPUTE_PGM_RSRC2:TGID_Y_EN: 0
; COMPUTE_PGM_RSRC2:TGID_Z_EN: 0
; COMPUTE_PGM_RSRC2:TIDIG_COMP_CNT: 0
; COMPUTE_PGM_RSRC3_GFX90A:ACCUM_OFFSET: 9
; COMPUTE_PGM_RSRC3_GFX90A:TG_SPLIT: 0
	.section	.text._ZN7rocprim17ROCPRIM_304000_NS6detail31onesweep_scan_histograms_kernelINS1_34wrapped_radix_sort_onesweep_configINS0_14default_configElN2at4cuda3cub6detail10OpaqueTypeILi1EEEEEmEEvPT0_,"axG",@progbits,_ZN7rocprim17ROCPRIM_304000_NS6detail31onesweep_scan_histograms_kernelINS1_34wrapped_radix_sort_onesweep_configINS0_14default_configElN2at4cuda3cub6detail10OpaqueTypeILi1EEEEEmEEvPT0_,comdat
	.protected	_ZN7rocprim17ROCPRIM_304000_NS6detail31onesweep_scan_histograms_kernelINS1_34wrapped_radix_sort_onesweep_configINS0_14default_configElN2at4cuda3cub6detail10OpaqueTypeILi1EEEEEmEEvPT0_ ; -- Begin function _ZN7rocprim17ROCPRIM_304000_NS6detail31onesweep_scan_histograms_kernelINS1_34wrapped_radix_sort_onesweep_configINS0_14default_configElN2at4cuda3cub6detail10OpaqueTypeILi1EEEEEmEEvPT0_
	.globl	_ZN7rocprim17ROCPRIM_304000_NS6detail31onesweep_scan_histograms_kernelINS1_34wrapped_radix_sort_onesweep_configINS0_14default_configElN2at4cuda3cub6detail10OpaqueTypeILi1EEEEEmEEvPT0_
	.p2align	8
	.type	_ZN7rocprim17ROCPRIM_304000_NS6detail31onesweep_scan_histograms_kernelINS1_34wrapped_radix_sort_onesweep_configINS0_14default_configElN2at4cuda3cub6detail10OpaqueTypeILi1EEEEEmEEvPT0_,@function
_ZN7rocprim17ROCPRIM_304000_NS6detail31onesweep_scan_histograms_kernelINS1_34wrapped_radix_sort_onesweep_configINS0_14default_configElN2at4cuda3cub6detail10OpaqueTypeILi1EEEEEmEEvPT0_: ; @_ZN7rocprim17ROCPRIM_304000_NS6detail31onesweep_scan_histograms_kernelINS1_34wrapped_radix_sort_onesweep_configINS0_14default_configElN2at4cuda3cub6detail10OpaqueTypeILi1EEEEEmEEvPT0_
; %bb.0:
	s_load_dwordx2 s[0:1], s[4:5], 0x0
	s_lshl_b32 s2, s6, 8
	s_mov_b32 s3, 0
	s_lshl_b64 s[2:3], s[2:3], 3
	v_lshlrev_b32_e32 v5, 3, v0
	s_waitcnt lgkmcnt(0)
	s_add_u32 s6, s0, s2
	s_movk_i32 s0, 0x100
	s_addc_u32 s7, s1, s3
	v_cmp_gt_u32_e32 vcc, s0, v0
                                        ; implicit-def: $vgpr2_vgpr3
	s_and_saveexec_b64 s[0:1], vcc
	s_cbranch_execz .LBB11_2
; %bb.1:
	global_load_dwordx2 v[2:3], v5, s[6:7]
.LBB11_2:
	s_or_b64 exec, exec, s[0:1]
	s_waitcnt vmcnt(0)
	v_mov_b32_dpp v4, v2 row_shr:1 row_mask:0xf bank_mask:0xf
	v_add_co_u32_e64 v4, s[0:1], v2, v4
	v_mbcnt_lo_u32_b32 v1, -1, 0
	v_addc_co_u32_e64 v8, s[0:1], 0, v3, s[0:1]
	v_mbcnt_hi_u32_b32 v6, -1, v1
	v_mov_b32_dpp v7, v3 row_shr:1 row_mask:0xf bank_mask:0xf
	v_add_co_u32_e64 v9, s[0:1], 0, v4
	v_and_b32_e32 v1, 15, v6
	v_addc_co_u32_e64 v7, s[0:1], v7, v8, s[0:1]
	v_cmp_eq_u32_e64 s[0:1], 0, v1
	v_cndmask_b32_e64 v4, v4, v2, s[0:1]
	v_cndmask_b32_e64 v7, v7, v3, s[0:1]
	v_cndmask_b32_e64 v8, v9, v2, s[0:1]
	v_mov_b32_dpp v9, v4 row_shr:2 row_mask:0xf bank_mask:0xf
	v_mov_b32_dpp v10, v7 row_shr:2 row_mask:0xf bank_mask:0xf
	v_add_co_u32_e64 v9, s[0:1], v9, v8
	v_addc_co_u32_e64 v10, s[0:1], v10, v7, s[0:1]
	v_cmp_lt_u32_e64 s[0:1], 1, v1
	v_cndmask_b32_e64 v4, v4, v9, s[0:1]
	v_cndmask_b32_e64 v7, v7, v10, s[0:1]
	v_cndmask_b32_e64 v8, v8, v9, s[0:1]
	v_mov_b32_dpp v9, v4 row_shr:4 row_mask:0xf bank_mask:0xf
	v_mov_b32_dpp v10, v7 row_shr:4 row_mask:0xf bank_mask:0xf
	v_add_co_u32_e64 v9, s[0:1], v9, v8
	v_addc_co_u32_e64 v10, s[0:1], v10, v7, s[0:1]
	v_cmp_lt_u32_e64 s[0:1], 3, v1
	;; [unrolled: 8-line block ×3, first 2 shown]
	v_cndmask_b32_e64 v11, v4, v9, s[0:1]
	v_cndmask_b32_e64 v1, v7, v10, s[0:1]
	;; [unrolled: 1-line block ×3, first 2 shown]
	v_mov_b32_dpp v7, v11 row_bcast:15 row_mask:0xf bank_mask:0xf
	v_mov_b32_dpp v8, v1 row_bcast:15 row_mask:0xf bank_mask:0xf
	v_and_b32_e32 v10, 16, v6
	v_add_co_u32_e64 v7, s[0:1], v7, v4
	v_addc_co_u32_e64 v9, s[0:1], v8, v1, s[0:1]
	v_cmp_eq_u32_e64 s[2:3], 0, v10
	v_cndmask_b32_e64 v10, v9, v1, s[2:3]
	v_cndmask_b32_e64 v8, v7, v11, s[2:3]
	v_cmp_eq_u32_e64 s[0:1], 0, v6
	v_mov_b32_dpp v10, v10 row_bcast:31 row_mask:0xf bank_mask:0xf
	v_mov_b32_dpp v8, v8 row_bcast:31 row_mask:0xf bank_mask:0xf
	v_cmp_ne_u32_e64 s[4:5], 0, v6
	s_and_saveexec_b64 s[8:9], s[4:5]
; %bb.3:
	v_cndmask_b32_e64 v1, v9, v1, s[2:3]
	v_cndmask_b32_e64 v2, v7, v4, s[2:3]
	v_cmp_lt_u32_e64 s[2:3], 31, v6
	v_cndmask_b32_e64 v4, 0, v8, s[2:3]
	v_cndmask_b32_e64 v3, 0, v10, s[2:3]
	v_add_co_u32_e64 v2, s[2:3], v4, v2
	v_addc_co_u32_e64 v3, s[2:3], v3, v1, s[2:3]
; %bb.4:
	s_or_b64 exec, exec, s[8:9]
	v_or_b32_e32 v1, 63, v0
	v_lshrrev_b32_e32 v4, 6, v0
	v_cmp_eq_u32_e64 s[2:3], v1, v0
	s_and_saveexec_b64 s[4:5], s[2:3]
	s_cbranch_execz .LBB11_6
; %bb.5:
	v_lshlrev_b32_e32 v1, 3, v4
	ds_write_b64 v1, v[2:3]
.LBB11_6:
	s_or_b64 exec, exec, s[4:5]
	v_cmp_gt_u32_e64 s[2:3], 4, v0
	s_waitcnt lgkmcnt(0)
	s_barrier
	s_and_saveexec_b64 s[4:5], s[2:3]
	s_cbranch_execz .LBB11_8
; %bb.7:
	ds_read_b64 v[8:9], v5
	v_and_b32_e32 v1, 3, v6
	s_waitcnt lgkmcnt(0)
	v_mov_b32_dpp v7, v8 row_shr:1 row_mask:0xf bank_mask:0xf
	v_add_co_u32_e64 v7, s[2:3], v8, v7
	v_addc_co_u32_e64 v11, s[2:3], 0, v9, s[2:3]
	v_mov_b32_dpp v10, v9 row_shr:1 row_mask:0xf bank_mask:0xf
	v_add_co_u32_e64 v12, s[2:3], 0, v7
	v_addc_co_u32_e64 v10, s[2:3], v10, v11, s[2:3]
	v_cmp_eq_u32_e64 s[2:3], 0, v1
	v_cndmask_b32_e64 v7, v7, v8, s[2:3]
	v_cndmask_b32_e64 v9, v10, v9, s[2:3]
	;; [unrolled: 1-line block ×3, first 2 shown]
	v_mov_b32_dpp v7, v7 row_shr:2 row_mask:0xf bank_mask:0xf
	v_cmp_lt_u32_e64 s[2:3], 1, v1
	v_mov_b32_dpp v8, v9 row_shr:2 row_mask:0xf bank_mask:0xf
	v_cndmask_b32_e64 v1, 0, v7, s[2:3]
	v_cndmask_b32_e64 v7, 0, v8, s[2:3]
	v_add_co_u32_e64 v8, s[2:3], v1, v10
	v_addc_co_u32_e64 v9, s[2:3], v7, v9, s[2:3]
	ds_write_b64 v5, v[8:9]
.LBB11_8:
	s_or_b64 exec, exec, s[4:5]
	v_cmp_lt_u32_e64 s[2:3], 63, v0
	v_pk_mov_b32 v[0:1], 0, 0
	s_waitcnt lgkmcnt(0)
	s_barrier
	s_and_saveexec_b64 s[4:5], s[2:3]
	s_cbranch_execz .LBB11_10
; %bb.9:
	v_lshl_add_u32 v0, v4, 3, -8
	ds_read_b64 v[0:1], v0
.LBB11_10:
	s_or_b64 exec, exec, s[4:5]
	s_waitcnt lgkmcnt(0)
	v_add_co_u32_e64 v2, s[2:3], v0, v2
	v_addc_co_u32_e64 v3, s[2:3], v1, v3, s[2:3]
	v_add_u32_e32 v4, -1, v6
	v_and_b32_e32 v7, 64, v6
	v_cmp_lt_i32_e64 s[2:3], v4, v7
	v_cndmask_b32_e64 v4, v4, v6, s[2:3]
	v_lshlrev_b32_e32 v4, 2, v4
	ds_bpermute_b32 v2, v4, v2
	ds_bpermute_b32 v3, v4, v3
	s_and_saveexec_b64 s[2:3], vcc
	s_cbranch_execz .LBB11_12
; %bb.11:
	s_waitcnt lgkmcnt(0)
	v_cndmask_b32_e64 v1, v3, v1, s[0:1]
	v_cndmask_b32_e64 v0, v2, v0, s[0:1]
	global_store_dwordx2 v5, v[0:1], s[6:7]
.LBB11_12:
	s_endpgm
	.section	.rodata,"a",@progbits
	.p2align	6, 0x0
	.amdhsa_kernel _ZN7rocprim17ROCPRIM_304000_NS6detail31onesweep_scan_histograms_kernelINS1_34wrapped_radix_sort_onesweep_configINS0_14default_configElN2at4cuda3cub6detail10OpaqueTypeILi1EEEEEmEEvPT0_
		.amdhsa_group_segment_fixed_size 32
		.amdhsa_private_segment_fixed_size 0
		.amdhsa_kernarg_size 8
		.amdhsa_user_sgpr_count 6
		.amdhsa_user_sgpr_private_segment_buffer 1
		.amdhsa_user_sgpr_dispatch_ptr 0
		.amdhsa_user_sgpr_queue_ptr 0
		.amdhsa_user_sgpr_kernarg_segment_ptr 1
		.amdhsa_user_sgpr_dispatch_id 0
		.amdhsa_user_sgpr_flat_scratch_init 0
		.amdhsa_user_sgpr_kernarg_preload_length 0
		.amdhsa_user_sgpr_kernarg_preload_offset 0
		.amdhsa_user_sgpr_private_segment_size 0
		.amdhsa_uses_dynamic_stack 0
		.amdhsa_system_sgpr_private_segment_wavefront_offset 0
		.amdhsa_system_sgpr_workgroup_id_x 1
		.amdhsa_system_sgpr_workgroup_id_y 0
		.amdhsa_system_sgpr_workgroup_id_z 0
		.amdhsa_system_sgpr_workgroup_info 0
		.amdhsa_system_vgpr_workitem_id 0
		.amdhsa_next_free_vgpr 13
		.amdhsa_next_free_sgpr 10
		.amdhsa_accum_offset 16
		.amdhsa_reserve_vcc 1
		.amdhsa_reserve_flat_scratch 0
		.amdhsa_float_round_mode_32 0
		.amdhsa_float_round_mode_16_64 0
		.amdhsa_float_denorm_mode_32 3
		.amdhsa_float_denorm_mode_16_64 3
		.amdhsa_dx10_clamp 1
		.amdhsa_ieee_mode 1
		.amdhsa_fp16_overflow 0
		.amdhsa_tg_split 0
		.amdhsa_exception_fp_ieee_invalid_op 0
		.amdhsa_exception_fp_denorm_src 0
		.amdhsa_exception_fp_ieee_div_zero 0
		.amdhsa_exception_fp_ieee_overflow 0
		.amdhsa_exception_fp_ieee_underflow 0
		.amdhsa_exception_fp_ieee_inexact 0
		.amdhsa_exception_int_div_zero 0
	.end_amdhsa_kernel
	.section	.text._ZN7rocprim17ROCPRIM_304000_NS6detail31onesweep_scan_histograms_kernelINS1_34wrapped_radix_sort_onesweep_configINS0_14default_configElN2at4cuda3cub6detail10OpaqueTypeILi1EEEEEmEEvPT0_,"axG",@progbits,_ZN7rocprim17ROCPRIM_304000_NS6detail31onesweep_scan_histograms_kernelINS1_34wrapped_radix_sort_onesweep_configINS0_14default_configElN2at4cuda3cub6detail10OpaqueTypeILi1EEEEEmEEvPT0_,comdat
.Lfunc_end11:
	.size	_ZN7rocprim17ROCPRIM_304000_NS6detail31onesweep_scan_histograms_kernelINS1_34wrapped_radix_sort_onesweep_configINS0_14default_configElN2at4cuda3cub6detail10OpaqueTypeILi1EEEEEmEEvPT0_, .Lfunc_end11-_ZN7rocprim17ROCPRIM_304000_NS6detail31onesweep_scan_histograms_kernelINS1_34wrapped_radix_sort_onesweep_configINS0_14default_configElN2at4cuda3cub6detail10OpaqueTypeILi1EEEEEmEEvPT0_
                                        ; -- End function
	.section	.AMDGPU.csdata,"",@progbits
; Kernel info:
; codeLenInByte = 900
; NumSgprs: 14
; NumVgprs: 13
; NumAgprs: 0
; TotalNumVgprs: 13
; ScratchSize: 0
; MemoryBound: 0
; FloatMode: 240
; IeeeMode: 1
; LDSByteSize: 32 bytes/workgroup (compile time only)
; SGPRBlocks: 1
; VGPRBlocks: 1
; NumSGPRsForWavesPerEU: 14
; NumVGPRsForWavesPerEU: 13
; AccumOffset: 16
; Occupancy: 8
; WaveLimiterHint : 0
; COMPUTE_PGM_RSRC2:SCRATCH_EN: 0
; COMPUTE_PGM_RSRC2:USER_SGPR: 6
; COMPUTE_PGM_RSRC2:TRAP_HANDLER: 0
; COMPUTE_PGM_RSRC2:TGID_X_EN: 1
; COMPUTE_PGM_RSRC2:TGID_Y_EN: 0
; COMPUTE_PGM_RSRC2:TGID_Z_EN: 0
; COMPUTE_PGM_RSRC2:TIDIG_COMP_CNT: 0
; COMPUTE_PGM_RSRC3_GFX90A:ACCUM_OFFSET: 3
; COMPUTE_PGM_RSRC3_GFX90A:TG_SPLIT: 0
	.section	.text._ZN7rocprim17ROCPRIM_304000_NS6detail16transform_kernelINS1_24wrapped_transform_configINS0_14default_configElEElPKlPlNS0_8identityIlEEEEvT1_mT2_T3_,"axG",@progbits,_ZN7rocprim17ROCPRIM_304000_NS6detail16transform_kernelINS1_24wrapped_transform_configINS0_14default_configElEElPKlPlNS0_8identityIlEEEEvT1_mT2_T3_,comdat
	.protected	_ZN7rocprim17ROCPRIM_304000_NS6detail16transform_kernelINS1_24wrapped_transform_configINS0_14default_configElEElPKlPlNS0_8identityIlEEEEvT1_mT2_T3_ ; -- Begin function _ZN7rocprim17ROCPRIM_304000_NS6detail16transform_kernelINS1_24wrapped_transform_configINS0_14default_configElEElPKlPlNS0_8identityIlEEEEvT1_mT2_T3_
	.globl	_ZN7rocprim17ROCPRIM_304000_NS6detail16transform_kernelINS1_24wrapped_transform_configINS0_14default_configElEElPKlPlNS0_8identityIlEEEEvT1_mT2_T3_
	.p2align	8
	.type	_ZN7rocprim17ROCPRIM_304000_NS6detail16transform_kernelINS1_24wrapped_transform_configINS0_14default_configElEElPKlPlNS0_8identityIlEEEEvT1_mT2_T3_,@function
_ZN7rocprim17ROCPRIM_304000_NS6detail16transform_kernelINS1_24wrapped_transform_configINS0_14default_configElEElPKlPlNS0_8identityIlEEEEvT1_mT2_T3_: ; @_ZN7rocprim17ROCPRIM_304000_NS6detail16transform_kernelINS1_24wrapped_transform_configINS0_14default_configElEElPKlPlNS0_8identityIlEEEEvT1_mT2_T3_
; %bb.0:
	s_load_dword s7, s[4:5], 0x20
	s_load_dwordx4 s[0:3], s[4:5], 0x0
	s_load_dwordx2 s[8:9], s[4:5], 0x10
	s_lshl_b32 s10, s6, 9
	s_mov_b32 s11, 0
	s_waitcnt lgkmcnt(0)
	s_add_i32 s7, s7, -1
	s_lshl_b64 s[4:5], s[10:11], 3
	s_add_u32 s0, s0, s4
	s_addc_u32 s1, s1, s5
	v_lshlrev_b32_e32 v1, 3, v0
	v_mov_b32_e32 v2, s1
	v_add_co_u32_e32 v6, vcc, s0, v1
	s_cmp_lg_u32 s6, s7
	v_addc_co_u32_e32 v7, vcc, 0, v2, vcc
	s_cbranch_scc0 .LBB12_2
; %bb.1:
	global_load_dwordx2 v[2:3], v[6:7], off
	global_load_dwordx2 v[4:5], v[6:7], off offset:2048
	s_add_u32 s6, s8, s4
	s_addc_u32 s7, s9, s5
	s_waitcnt vmcnt(1)
	global_store_dwordx2 v1, v[2:3], s[6:7]
	s_mov_b64 s[6:7], -1
	s_cbranch_execz .LBB12_3
	s_branch .LBB12_10
.LBB12_2:
	s_mov_b64 s[6:7], 0
                                        ; implicit-def: $vgpr4_vgpr5
.LBB12_3:
	s_sub_i32 s2, s2, s10
	v_cmp_gt_u32_e32 vcc, s2, v0
                                        ; implicit-def: $vgpr2_vgpr3_vgpr4_vgpr5
	s_and_saveexec_b64 s[0:1], vcc
	s_cbranch_execz .LBB12_5
; %bb.4:
	global_load_dwordx2 v[2:3], v[6:7], off
.LBB12_5:
	s_or_b64 exec, exec, s[0:1]
	v_or_b32_e32 v0, 0x100, v0
	v_cmp_gt_u32_e64 s[0:1], s2, v0
	s_and_saveexec_b64 s[2:3], s[0:1]
	s_cbranch_execnz .LBB12_13
; %bb.6:
	s_or_b64 exec, exec, s[2:3]
	s_and_saveexec_b64 s[2:3], vcc
	s_cbranch_execnz .LBB12_14
.LBB12_7:
	s_or_b64 exec, exec, s[2:3]
	s_and_saveexec_b64 s[2:3], s[0:1]
.LBB12_8:
	s_or_b64 s[6:7], s[6:7], exec
.LBB12_9:
	s_or_b64 exec, exec, s[2:3]
.LBB12_10:
	s_and_saveexec_b64 s[0:1], s[6:7]
	s_cbranch_execnz .LBB12_12
; %bb.11:
	s_endpgm
.LBB12_12:
	s_add_u32 s0, s8, s4
	s_addc_u32 s1, s9, s5
	s_waitcnt vmcnt(0)
	global_store_dwordx2 v1, v[4:5], s[0:1] offset:2048
	s_endpgm
.LBB12_13:
	global_load_dwordx2 v[4:5], v[6:7], off offset:2048
	s_or_b64 exec, exec, s[2:3]
	s_and_saveexec_b64 s[2:3], vcc
	s_cbranch_execz .LBB12_7
.LBB12_14:
	s_add_u32 s10, s8, s4
	s_addc_u32 s11, s9, s5
	s_waitcnt vmcnt(0)
	global_store_dwordx2 v1, v[2:3], s[10:11]
	s_or_b64 exec, exec, s[2:3]
	s_and_saveexec_b64 s[2:3], s[0:1]
	s_cbranch_execnz .LBB12_8
	s_branch .LBB12_9
	.section	.rodata,"a",@progbits
	.p2align	6, 0x0
	.amdhsa_kernel _ZN7rocprim17ROCPRIM_304000_NS6detail16transform_kernelINS1_24wrapped_transform_configINS0_14default_configElEElPKlPlNS0_8identityIlEEEEvT1_mT2_T3_
		.amdhsa_group_segment_fixed_size 0
		.amdhsa_private_segment_fixed_size 0
		.amdhsa_kernarg_size 288
		.amdhsa_user_sgpr_count 6
		.amdhsa_user_sgpr_private_segment_buffer 1
		.amdhsa_user_sgpr_dispatch_ptr 0
		.amdhsa_user_sgpr_queue_ptr 0
		.amdhsa_user_sgpr_kernarg_segment_ptr 1
		.amdhsa_user_sgpr_dispatch_id 0
		.amdhsa_user_sgpr_flat_scratch_init 0
		.amdhsa_user_sgpr_kernarg_preload_length 0
		.amdhsa_user_sgpr_kernarg_preload_offset 0
		.amdhsa_user_sgpr_private_segment_size 0
		.amdhsa_uses_dynamic_stack 0
		.amdhsa_system_sgpr_private_segment_wavefront_offset 0
		.amdhsa_system_sgpr_workgroup_id_x 1
		.amdhsa_system_sgpr_workgroup_id_y 0
		.amdhsa_system_sgpr_workgroup_id_z 0
		.amdhsa_system_sgpr_workgroup_info 0
		.amdhsa_system_vgpr_workitem_id 0
		.amdhsa_next_free_vgpr 8
		.amdhsa_next_free_sgpr 12
		.amdhsa_accum_offset 8
		.amdhsa_reserve_vcc 1
		.amdhsa_reserve_flat_scratch 0
		.amdhsa_float_round_mode_32 0
		.amdhsa_float_round_mode_16_64 0
		.amdhsa_float_denorm_mode_32 3
		.amdhsa_float_denorm_mode_16_64 3
		.amdhsa_dx10_clamp 1
		.amdhsa_ieee_mode 1
		.amdhsa_fp16_overflow 0
		.amdhsa_tg_split 0
		.amdhsa_exception_fp_ieee_invalid_op 0
		.amdhsa_exception_fp_denorm_src 0
		.amdhsa_exception_fp_ieee_div_zero 0
		.amdhsa_exception_fp_ieee_overflow 0
		.amdhsa_exception_fp_ieee_underflow 0
		.amdhsa_exception_fp_ieee_inexact 0
		.amdhsa_exception_int_div_zero 0
	.end_amdhsa_kernel
	.section	.text._ZN7rocprim17ROCPRIM_304000_NS6detail16transform_kernelINS1_24wrapped_transform_configINS0_14default_configElEElPKlPlNS0_8identityIlEEEEvT1_mT2_T3_,"axG",@progbits,_ZN7rocprim17ROCPRIM_304000_NS6detail16transform_kernelINS1_24wrapped_transform_configINS0_14default_configElEElPKlPlNS0_8identityIlEEEEvT1_mT2_T3_,comdat
.Lfunc_end12:
	.size	_ZN7rocprim17ROCPRIM_304000_NS6detail16transform_kernelINS1_24wrapped_transform_configINS0_14default_configElEElPKlPlNS0_8identityIlEEEEvT1_mT2_T3_, .Lfunc_end12-_ZN7rocprim17ROCPRIM_304000_NS6detail16transform_kernelINS1_24wrapped_transform_configINS0_14default_configElEElPKlPlNS0_8identityIlEEEEvT1_mT2_T3_
                                        ; -- End function
	.section	.AMDGPU.csdata,"",@progbits
; Kernel info:
; codeLenInByte = 300
; NumSgprs: 16
; NumVgprs: 8
; NumAgprs: 0
; TotalNumVgprs: 8
; ScratchSize: 0
; MemoryBound: 1
; FloatMode: 240
; IeeeMode: 1
; LDSByteSize: 0 bytes/workgroup (compile time only)
; SGPRBlocks: 1
; VGPRBlocks: 0
; NumSGPRsForWavesPerEU: 16
; NumVGPRsForWavesPerEU: 8
; AccumOffset: 8
; Occupancy: 8
; WaveLimiterHint : 1
; COMPUTE_PGM_RSRC2:SCRATCH_EN: 0
; COMPUTE_PGM_RSRC2:USER_SGPR: 6
; COMPUTE_PGM_RSRC2:TRAP_HANDLER: 0
; COMPUTE_PGM_RSRC2:TGID_X_EN: 1
; COMPUTE_PGM_RSRC2:TGID_Y_EN: 0
; COMPUTE_PGM_RSRC2:TGID_Z_EN: 0
; COMPUTE_PGM_RSRC2:TIDIG_COMP_CNT: 0
; COMPUTE_PGM_RSRC3_GFX90A:ACCUM_OFFSET: 1
; COMPUTE_PGM_RSRC3_GFX90A:TG_SPLIT: 0
	.section	.text._ZN7rocprim17ROCPRIM_304000_NS6detail16transform_kernelINS1_24wrapped_transform_configINS0_14default_configEN2at4cuda3cub6detail10OpaqueTypeILi1EEEEESA_PKSA_PSA_NS0_8identityISA_EEEEvT1_mT2_T3_,"axG",@progbits,_ZN7rocprim17ROCPRIM_304000_NS6detail16transform_kernelINS1_24wrapped_transform_configINS0_14default_configEN2at4cuda3cub6detail10OpaqueTypeILi1EEEEESA_PKSA_PSA_NS0_8identityISA_EEEEvT1_mT2_T3_,comdat
	.protected	_ZN7rocprim17ROCPRIM_304000_NS6detail16transform_kernelINS1_24wrapped_transform_configINS0_14default_configEN2at4cuda3cub6detail10OpaqueTypeILi1EEEEESA_PKSA_PSA_NS0_8identityISA_EEEEvT1_mT2_T3_ ; -- Begin function _ZN7rocprim17ROCPRIM_304000_NS6detail16transform_kernelINS1_24wrapped_transform_configINS0_14default_configEN2at4cuda3cub6detail10OpaqueTypeILi1EEEEESA_PKSA_PSA_NS0_8identityISA_EEEEvT1_mT2_T3_
	.globl	_ZN7rocprim17ROCPRIM_304000_NS6detail16transform_kernelINS1_24wrapped_transform_configINS0_14default_configEN2at4cuda3cub6detail10OpaqueTypeILi1EEEEESA_PKSA_PSA_NS0_8identityISA_EEEEvT1_mT2_T3_
	.p2align	8
	.type	_ZN7rocprim17ROCPRIM_304000_NS6detail16transform_kernelINS1_24wrapped_transform_configINS0_14default_configEN2at4cuda3cub6detail10OpaqueTypeILi1EEEEESA_PKSA_PSA_NS0_8identityISA_EEEEvT1_mT2_T3_,@function
_ZN7rocprim17ROCPRIM_304000_NS6detail16transform_kernelINS1_24wrapped_transform_configINS0_14default_configEN2at4cuda3cub6detail10OpaqueTypeILi1EEEEESA_PKSA_PSA_NS0_8identityISA_EEEEvT1_mT2_T3_: ; @_ZN7rocprim17ROCPRIM_304000_NS6detail16transform_kernelINS1_24wrapped_transform_configINS0_14default_configEN2at4cuda3cub6detail10OpaqueTypeILi1EEEEESA_PKSA_PSA_NS0_8identityISA_EEEEvT1_mT2_T3_
; %bb.0:
	s_load_dword s7, s[4:5], 0x20
	s_load_dwordx4 s[0:3], s[4:5], 0x0
	s_load_dwordx2 s[30:31], s[4:5], 0x10
	s_lshl_b32 s33, s6, 10
	s_waitcnt lgkmcnt(0)
	s_add_i32 s7, s7, -1
	s_add_u32 s0, s0, s33
	s_addc_u32 s1, s1, 0
	v_mov_b32_e32 v1, s1
	v_add_co_u32_e32 v2, vcc, s0, v0
	s_cmp_lg_u32 s6, s7
	v_addc_co_u32_e32 v3, vcc, 0, v1, vcc
	s_cbranch_scc0 .LBB13_2
; %bb.1:
	global_load_ubyte v1, v[2:3], off
	global_load_ubyte v5, v[2:3], off offset:64
	global_load_ubyte v8, v[2:3], off offset:128
	;; [unrolled: 1-line block ×15, first 2 shown]
	s_add_u32 s3, s30, s33
	s_addc_u32 s4, s31, 0
	v_mov_b32_e32 v7, s4
	v_add_co_u32_e32 v6, vcc, s3, v0
	v_addc_co_u32_e32 v7, vcc, 0, v7, vcc
	s_mov_b64 s[34:35], -1
	s_waitcnt vmcnt(15)
	global_store_byte v[6:7], v1, off
	s_waitcnt vmcnt(15)
	global_store_byte v[6:7], v5, off offset:64
	s_waitcnt vmcnt(15)
	global_store_byte v[6:7], v8, off offset:128
	;; [unrolled: 2-line block ×14, first 2 shown]
	s_cbranch_execz .LBB13_3
	s_branch .LBB13_52
.LBB13_2:
	s_mov_b64 s[34:35], 0
                                        ; implicit-def: $vgpr4
.LBB13_3:
	s_sub_i32 s34, s2, s33
	v_cmp_gt_u32_e32 vcc, s34, v0
                                        ; implicit-def: $vgpr1
	s_and_saveexec_b64 s[0:1], vcc
	s_cbranch_execz .LBB13_5
; %bb.4:
	global_load_ubyte v1, v[2:3], off
.LBB13_5:
	s_or_b64 exec, exec, s[0:1]
	s_waitcnt vmcnt(15)
	v_or_b32_e32 v4, 64, v0
	v_cmp_gt_u32_e64 s[0:1], s34, v4
                                        ; implicit-def: $vgpr5
	s_and_saveexec_b64 s[2:3], s[0:1]
	s_cbranch_execz .LBB13_7
; %bb.6:
	global_load_ubyte v5, v[2:3], off offset:64
.LBB13_7:
	s_or_b64 exec, exec, s[2:3]
	v_or_b32_e32 v4, 0x80, v0
	v_cmp_gt_u32_e64 s[2:3], s34, v4
                                        ; implicit-def: $vgpr6
	s_and_saveexec_b64 s[4:5], s[2:3]
	s_cbranch_execz .LBB13_9
; %bb.8:
	global_load_ubyte v6, v[2:3], off offset:128
.LBB13_9:
	s_or_b64 exec, exec, s[4:5]
	v_or_b32_e32 v4, 0xc0, v0
	v_cmp_gt_u32_e64 s[4:5], s34, v4
                                        ; implicit-def: $vgpr7
	s_and_saveexec_b64 s[6:7], s[4:5]
	s_cbranch_execz .LBB13_11
; %bb.10:
	global_load_ubyte v7, v[2:3], off offset:192
.LBB13_11:
	s_or_b64 exec, exec, s[6:7]
	v_or_b32_e32 v4, 0x100, v0
	v_cmp_gt_u32_e64 s[6:7], s34, v4
                                        ; implicit-def: $vgpr8
	s_and_saveexec_b64 s[8:9], s[6:7]
	s_cbranch_execz .LBB13_13
; %bb.12:
	global_load_ubyte v8, v[2:3], off offset:256
.LBB13_13:
	s_or_b64 exec, exec, s[8:9]
	v_or_b32_e32 v4, 0x140, v0
	v_cmp_gt_u32_e64 s[8:9], s34, v4
                                        ; implicit-def: $vgpr9
	s_and_saveexec_b64 s[10:11], s[8:9]
	s_cbranch_execz .LBB13_15
; %bb.14:
	global_load_ubyte v9, v[2:3], off offset:320
.LBB13_15:
	s_or_b64 exec, exec, s[10:11]
	v_or_b32_e32 v4, 0x180, v0
	v_cmp_gt_u32_e64 s[10:11], s34, v4
                                        ; implicit-def: $vgpr10
	s_and_saveexec_b64 s[12:13], s[10:11]
	s_cbranch_execz .LBB13_17
; %bb.16:
	global_load_ubyte v10, v[2:3], off offset:384
.LBB13_17:
	s_or_b64 exec, exec, s[12:13]
	v_or_b32_e32 v4, 0x1c0, v0
	v_cmp_gt_u32_e64 s[12:13], s34, v4
                                        ; implicit-def: $vgpr11
	s_and_saveexec_b64 s[14:15], s[12:13]
	s_cbranch_execz .LBB13_19
; %bb.18:
	global_load_ubyte v11, v[2:3], off offset:448
.LBB13_19:
	s_or_b64 exec, exec, s[14:15]
	v_or_b32_e32 v4, 0x200, v0
	v_cmp_gt_u32_e64 s[14:15], s34, v4
                                        ; implicit-def: $vgpr12
	s_and_saveexec_b64 s[16:17], s[14:15]
	s_cbranch_execz .LBB13_21
; %bb.20:
	global_load_ubyte v12, v[2:3], off offset:512
.LBB13_21:
	s_or_b64 exec, exec, s[16:17]
	v_or_b32_e32 v4, 0x240, v0
	v_cmp_gt_u32_e64 s[16:17], s34, v4
                                        ; implicit-def: $vgpr13
	s_and_saveexec_b64 s[18:19], s[16:17]
	s_cbranch_execz .LBB13_23
; %bb.22:
	global_load_ubyte v13, v[2:3], off offset:576
.LBB13_23:
	s_or_b64 exec, exec, s[18:19]
	v_or_b32_e32 v4, 0x280, v0
	v_cmp_gt_u32_e64 s[18:19], s34, v4
                                        ; implicit-def: $vgpr14
	s_and_saveexec_b64 s[20:21], s[18:19]
	s_cbranch_execz .LBB13_25
; %bb.24:
	global_load_ubyte v14, v[2:3], off offset:640
.LBB13_25:
	s_or_b64 exec, exec, s[20:21]
	v_or_b32_e32 v4, 0x2c0, v0
	v_cmp_gt_u32_e64 s[20:21], s34, v4
                                        ; implicit-def: $vgpr15
	s_and_saveexec_b64 s[22:23], s[20:21]
	s_cbranch_execz .LBB13_27
; %bb.26:
	global_load_ubyte v15, v[2:3], off offset:704
.LBB13_27:
	s_or_b64 exec, exec, s[22:23]
	v_or_b32_e32 v4, 0x300, v0
	v_cmp_gt_u32_e64 s[22:23], s34, v4
                                        ; implicit-def: $vgpr16
	s_and_saveexec_b64 s[24:25], s[22:23]
	s_cbranch_execz .LBB13_29
; %bb.28:
	global_load_ubyte v16, v[2:3], off offset:768
.LBB13_29:
	s_or_b64 exec, exec, s[24:25]
	v_or_b32_e32 v4, 0x340, v0
	v_cmp_gt_u32_e64 s[24:25], s34, v4
                                        ; implicit-def: $vgpr17
	s_and_saveexec_b64 s[26:27], s[24:25]
	s_cbranch_execz .LBB13_31
; %bb.30:
	global_load_ubyte v17, v[2:3], off offset:832
.LBB13_31:
	s_or_b64 exec, exec, s[26:27]
	v_or_b32_e32 v4, 0x380, v0
	v_cmp_gt_u32_e64 s[26:27], s34, v4
                                        ; implicit-def: $vgpr18
	s_and_saveexec_b64 s[28:29], s[26:27]
	s_cbranch_execz .LBB13_33
; %bb.32:
	global_load_ubyte v18, v[2:3], off offset:896
.LBB13_33:
	s_or_b64 exec, exec, s[28:29]
	v_or_b32_e32 v4, 0x3c0, v0
	v_cmp_gt_u32_e64 s[34:35], s34, v4
                                        ; implicit-def: $vgpr4
	s_and_saveexec_b64 s[28:29], s[34:35]
	s_cbranch_execz .LBB13_35
; %bb.34:
	global_load_ubyte v4, v[2:3], off offset:960
.LBB13_35:
	s_or_b64 exec, exec, s[28:29]
	s_add_u32 s28, s30, s33
	s_addc_u32 s29, s31, 0
	v_mov_b32_e32 v3, s29
	v_add_co_u32_e64 v2, s[28:29], s28, v0
	v_addc_co_u32_e64 v3, s[28:29], 0, v3, s[28:29]
	s_and_saveexec_b64 s[28:29], vcc
	s_xor_b64 s[28:29], exec, s[28:29]
	s_cbranch_execnz .LBB13_55
; %bb.36:
	s_or_b64 exec, exec, s[28:29]
	s_and_saveexec_b64 s[28:29], s[0:1]
	s_cbranch_execnz .LBB13_56
.LBB13_37:
	s_or_b64 exec, exec, s[28:29]
	s_and_saveexec_b64 s[0:1], s[2:3]
	s_cbranch_execnz .LBB13_57
.LBB13_38:
	s_or_b64 exec, exec, s[0:1]
	s_and_saveexec_b64 s[0:1], s[4:5]
	s_cbranch_execnz .LBB13_58
.LBB13_39:
	s_or_b64 exec, exec, s[0:1]
	s_and_saveexec_b64 s[0:1], s[6:7]
	s_cbranch_execnz .LBB13_59
.LBB13_40:
	s_or_b64 exec, exec, s[0:1]
	s_and_saveexec_b64 s[0:1], s[8:9]
	s_cbranch_execnz .LBB13_60
.LBB13_41:
	s_or_b64 exec, exec, s[0:1]
	s_and_saveexec_b64 s[0:1], s[10:11]
	s_cbranch_execnz .LBB13_61
.LBB13_42:
	s_or_b64 exec, exec, s[0:1]
	s_and_saveexec_b64 s[0:1], s[12:13]
	s_cbranch_execnz .LBB13_62
.LBB13_43:
	s_or_b64 exec, exec, s[0:1]
	s_and_saveexec_b64 s[0:1], s[14:15]
	s_cbranch_execnz .LBB13_63
.LBB13_44:
	s_or_b64 exec, exec, s[0:1]
	s_and_saveexec_b64 s[0:1], s[16:17]
	s_cbranch_execnz .LBB13_64
.LBB13_45:
	s_or_b64 exec, exec, s[0:1]
	s_and_saveexec_b64 s[0:1], s[18:19]
	s_cbranch_execnz .LBB13_65
.LBB13_46:
	s_or_b64 exec, exec, s[0:1]
	s_and_saveexec_b64 s[0:1], s[20:21]
	s_cbranch_execnz .LBB13_66
.LBB13_47:
	s_or_b64 exec, exec, s[0:1]
	s_and_saveexec_b64 s[0:1], s[22:23]
	s_cbranch_execnz .LBB13_67
.LBB13_48:
	s_or_b64 exec, exec, s[0:1]
	s_and_saveexec_b64 s[0:1], s[24:25]
	s_cbranch_execnz .LBB13_68
.LBB13_49:
	s_or_b64 exec, exec, s[0:1]
	s_and_saveexec_b64 s[0:1], s[26:27]
	s_cbranch_execz .LBB13_51
.LBB13_50:
	s_waitcnt vmcnt(0)
	global_store_byte v[2:3], v18, off offset:896
.LBB13_51:
	s_or_b64 exec, exec, s[0:1]
.LBB13_52:
	s_and_saveexec_b64 s[0:1], s[34:35]
	s_cbranch_execnz .LBB13_54
; %bb.53:
	s_endpgm
.LBB13_54:
	s_add_u32 s0, s30, s33
	s_addc_u32 s1, s31, 0
	s_waitcnt vmcnt(0)
	v_mov_b32_e32 v1, s1
	v_add_co_u32_e32 v0, vcc, s0, v0
	v_addc_co_u32_e32 v1, vcc, 0, v1, vcc
	global_store_byte v[0:1], v4, off offset:960
	s_endpgm
.LBB13_55:
	s_waitcnt vmcnt(0)
	global_store_byte v[2:3], v1, off
	s_or_b64 exec, exec, s[28:29]
	s_and_saveexec_b64 s[28:29], s[0:1]
	s_cbranch_execz .LBB13_37
.LBB13_56:
	s_waitcnt vmcnt(0)
	global_store_byte v[2:3], v5, off offset:64
	s_or_b64 exec, exec, s[28:29]
	s_and_saveexec_b64 s[0:1], s[2:3]
	s_cbranch_execz .LBB13_38
.LBB13_57:
	s_waitcnt vmcnt(0)
	global_store_byte v[2:3], v6, off offset:128
	s_or_b64 exec, exec, s[0:1]
	s_and_saveexec_b64 s[0:1], s[4:5]
	s_cbranch_execz .LBB13_39
.LBB13_58:
	s_waitcnt vmcnt(0)
	global_store_byte v[2:3], v7, off offset:192
	s_or_b64 exec, exec, s[0:1]
	s_and_saveexec_b64 s[0:1], s[6:7]
	s_cbranch_execz .LBB13_40
.LBB13_59:
	s_waitcnt vmcnt(0)
	global_store_byte v[2:3], v8, off offset:256
	s_or_b64 exec, exec, s[0:1]
	s_and_saveexec_b64 s[0:1], s[8:9]
	s_cbranch_execz .LBB13_41
.LBB13_60:
	s_waitcnt vmcnt(0)
	global_store_byte v[2:3], v9, off offset:320
	s_or_b64 exec, exec, s[0:1]
	s_and_saveexec_b64 s[0:1], s[10:11]
	s_cbranch_execz .LBB13_42
.LBB13_61:
	s_waitcnt vmcnt(0)
	global_store_byte v[2:3], v10, off offset:384
	s_or_b64 exec, exec, s[0:1]
	s_and_saveexec_b64 s[0:1], s[12:13]
	s_cbranch_execz .LBB13_43
.LBB13_62:
	s_waitcnt vmcnt(0)
	global_store_byte v[2:3], v11, off offset:448
	s_or_b64 exec, exec, s[0:1]
	s_and_saveexec_b64 s[0:1], s[14:15]
	s_cbranch_execz .LBB13_44
.LBB13_63:
	s_waitcnt vmcnt(0)
	global_store_byte v[2:3], v12, off offset:512
	s_or_b64 exec, exec, s[0:1]
	s_and_saveexec_b64 s[0:1], s[16:17]
	s_cbranch_execz .LBB13_45
.LBB13_64:
	s_waitcnt vmcnt(0)
	global_store_byte v[2:3], v13, off offset:576
	s_or_b64 exec, exec, s[0:1]
	s_and_saveexec_b64 s[0:1], s[18:19]
	s_cbranch_execz .LBB13_46
.LBB13_65:
	s_waitcnt vmcnt(0)
	global_store_byte v[2:3], v14, off offset:640
	s_or_b64 exec, exec, s[0:1]
	s_and_saveexec_b64 s[0:1], s[20:21]
	s_cbranch_execz .LBB13_47
.LBB13_66:
	s_waitcnt vmcnt(0)
	global_store_byte v[2:3], v15, off offset:704
	s_or_b64 exec, exec, s[0:1]
	s_and_saveexec_b64 s[0:1], s[22:23]
	s_cbranch_execz .LBB13_48
.LBB13_67:
	s_waitcnt vmcnt(0)
	global_store_byte v[2:3], v16, off offset:768
	s_or_b64 exec, exec, s[0:1]
	s_and_saveexec_b64 s[0:1], s[24:25]
	s_cbranch_execz .LBB13_49
.LBB13_68:
	s_waitcnt vmcnt(0)
	global_store_byte v[2:3], v17, off offset:832
	s_or_b64 exec, exec, s[0:1]
	s_and_saveexec_b64 s[0:1], s[26:27]
	s_cbranch_execnz .LBB13_50
	s_branch .LBB13_51
	.section	.rodata,"a",@progbits
	.p2align	6, 0x0
	.amdhsa_kernel _ZN7rocprim17ROCPRIM_304000_NS6detail16transform_kernelINS1_24wrapped_transform_configINS0_14default_configEN2at4cuda3cub6detail10OpaqueTypeILi1EEEEESA_PKSA_PSA_NS0_8identityISA_EEEEvT1_mT2_T3_
		.amdhsa_group_segment_fixed_size 0
		.amdhsa_private_segment_fixed_size 0
		.amdhsa_kernarg_size 288
		.amdhsa_user_sgpr_count 6
		.amdhsa_user_sgpr_private_segment_buffer 1
		.amdhsa_user_sgpr_dispatch_ptr 0
		.amdhsa_user_sgpr_queue_ptr 0
		.amdhsa_user_sgpr_kernarg_segment_ptr 1
		.amdhsa_user_sgpr_dispatch_id 0
		.amdhsa_user_sgpr_flat_scratch_init 0
		.amdhsa_user_sgpr_kernarg_preload_length 0
		.amdhsa_user_sgpr_kernarg_preload_offset 0
		.amdhsa_user_sgpr_private_segment_size 0
		.amdhsa_uses_dynamic_stack 0
		.amdhsa_system_sgpr_private_segment_wavefront_offset 0
		.amdhsa_system_sgpr_workgroup_id_x 1
		.amdhsa_system_sgpr_workgroup_id_y 0
		.amdhsa_system_sgpr_workgroup_id_z 0
		.amdhsa_system_sgpr_workgroup_info 0
		.amdhsa_system_vgpr_workitem_id 0
		.amdhsa_next_free_vgpr 21
		.amdhsa_next_free_sgpr 36
		.amdhsa_accum_offset 24
		.amdhsa_reserve_vcc 1
		.amdhsa_reserve_flat_scratch 0
		.amdhsa_float_round_mode_32 0
		.amdhsa_float_round_mode_16_64 0
		.amdhsa_float_denorm_mode_32 3
		.amdhsa_float_denorm_mode_16_64 3
		.amdhsa_dx10_clamp 1
		.amdhsa_ieee_mode 1
		.amdhsa_fp16_overflow 0
		.amdhsa_tg_split 0
		.amdhsa_exception_fp_ieee_invalid_op 0
		.amdhsa_exception_fp_denorm_src 0
		.amdhsa_exception_fp_ieee_div_zero 0
		.amdhsa_exception_fp_ieee_overflow 0
		.amdhsa_exception_fp_ieee_underflow 0
		.amdhsa_exception_fp_ieee_inexact 0
		.amdhsa_exception_int_div_zero 0
	.end_amdhsa_kernel
	.section	.text._ZN7rocprim17ROCPRIM_304000_NS6detail16transform_kernelINS1_24wrapped_transform_configINS0_14default_configEN2at4cuda3cub6detail10OpaqueTypeILi1EEEEESA_PKSA_PSA_NS0_8identityISA_EEEEvT1_mT2_T3_,"axG",@progbits,_ZN7rocprim17ROCPRIM_304000_NS6detail16transform_kernelINS1_24wrapped_transform_configINS0_14default_configEN2at4cuda3cub6detail10OpaqueTypeILi1EEEEESA_PKSA_PSA_NS0_8identityISA_EEEEvT1_mT2_T3_,comdat
.Lfunc_end13:
	.size	_ZN7rocprim17ROCPRIM_304000_NS6detail16transform_kernelINS1_24wrapped_transform_configINS0_14default_configEN2at4cuda3cub6detail10OpaqueTypeILi1EEEEESA_PKSA_PSA_NS0_8identityISA_EEEEvT1_mT2_T3_, .Lfunc_end13-_ZN7rocprim17ROCPRIM_304000_NS6detail16transform_kernelINS1_24wrapped_transform_configINS0_14default_configEN2at4cuda3cub6detail10OpaqueTypeILi1EEEEESA_PKSA_PSA_NS0_8identityISA_EEEEvT1_mT2_T3_
                                        ; -- End function
	.section	.AMDGPU.csdata,"",@progbits
; Kernel info:
; codeLenInByte = 1588
; NumSgprs: 40
; NumVgprs: 21
; NumAgprs: 0
; TotalNumVgprs: 21
; ScratchSize: 0
; MemoryBound: 0
; FloatMode: 240
; IeeeMode: 1
; LDSByteSize: 0 bytes/workgroup (compile time only)
; SGPRBlocks: 4
; VGPRBlocks: 2
; NumSGPRsForWavesPerEU: 40
; NumVGPRsForWavesPerEU: 21
; AccumOffset: 24
; Occupancy: 8
; WaveLimiterHint : 0
; COMPUTE_PGM_RSRC2:SCRATCH_EN: 0
; COMPUTE_PGM_RSRC2:USER_SGPR: 6
; COMPUTE_PGM_RSRC2:TRAP_HANDLER: 0
; COMPUTE_PGM_RSRC2:TGID_X_EN: 1
; COMPUTE_PGM_RSRC2:TGID_Y_EN: 0
; COMPUTE_PGM_RSRC2:TGID_Z_EN: 0
; COMPUTE_PGM_RSRC2:TIDIG_COMP_CNT: 0
; COMPUTE_PGM_RSRC3_GFX90A:ACCUM_OFFSET: 5
; COMPUTE_PGM_RSRC3_GFX90A:TG_SPLIT: 0
	.section	.text._ZN7rocprim17ROCPRIM_304000_NS6detail25onesweep_iteration_kernelINS1_34wrapped_radix_sort_onesweep_configINS0_14default_configElN2at4cuda3cub6detail10OpaqueTypeILi1EEEEELb1EPKlPlPKSA_PSA_mNS0_19identity_decomposerEEEvT1_T2_T3_T4_jPT5_SO_PNS1_23onesweep_lookback_stateET6_jjj,"axG",@progbits,_ZN7rocprim17ROCPRIM_304000_NS6detail25onesweep_iteration_kernelINS1_34wrapped_radix_sort_onesweep_configINS0_14default_configElN2at4cuda3cub6detail10OpaqueTypeILi1EEEEELb1EPKlPlPKSA_PSA_mNS0_19identity_decomposerEEEvT1_T2_T3_T4_jPT5_SO_PNS1_23onesweep_lookback_stateET6_jjj,comdat
	.protected	_ZN7rocprim17ROCPRIM_304000_NS6detail25onesweep_iteration_kernelINS1_34wrapped_radix_sort_onesweep_configINS0_14default_configElN2at4cuda3cub6detail10OpaqueTypeILi1EEEEELb1EPKlPlPKSA_PSA_mNS0_19identity_decomposerEEEvT1_T2_T3_T4_jPT5_SO_PNS1_23onesweep_lookback_stateET6_jjj ; -- Begin function _ZN7rocprim17ROCPRIM_304000_NS6detail25onesweep_iteration_kernelINS1_34wrapped_radix_sort_onesweep_configINS0_14default_configElN2at4cuda3cub6detail10OpaqueTypeILi1EEEEELb1EPKlPlPKSA_PSA_mNS0_19identity_decomposerEEEvT1_T2_T3_T4_jPT5_SO_PNS1_23onesweep_lookback_stateET6_jjj
	.globl	_ZN7rocprim17ROCPRIM_304000_NS6detail25onesweep_iteration_kernelINS1_34wrapped_radix_sort_onesweep_configINS0_14default_configElN2at4cuda3cub6detail10OpaqueTypeILi1EEEEELb1EPKlPlPKSA_PSA_mNS0_19identity_decomposerEEEvT1_T2_T3_T4_jPT5_SO_PNS1_23onesweep_lookback_stateET6_jjj
	.p2align	8
	.type	_ZN7rocprim17ROCPRIM_304000_NS6detail25onesweep_iteration_kernelINS1_34wrapped_radix_sort_onesweep_configINS0_14default_configElN2at4cuda3cub6detail10OpaqueTypeILi1EEEEELb1EPKlPlPKSA_PSA_mNS0_19identity_decomposerEEEvT1_T2_T3_T4_jPT5_SO_PNS1_23onesweep_lookback_stateET6_jjj,@function
_ZN7rocprim17ROCPRIM_304000_NS6detail25onesweep_iteration_kernelINS1_34wrapped_radix_sort_onesweep_configINS0_14default_configElN2at4cuda3cub6detail10OpaqueTypeILi1EEEEELb1EPKlPlPKSA_PSA_mNS0_19identity_decomposerEEEvT1_T2_T3_T4_jPT5_SO_PNS1_23onesweep_lookback_stateET6_jjj: ; @_ZN7rocprim17ROCPRIM_304000_NS6detail25onesweep_iteration_kernelINS1_34wrapped_radix_sort_onesweep_configINS0_14default_configElN2at4cuda3cub6detail10OpaqueTypeILi1EEEEELb1EPKlPlPKSA_PSA_mNS0_19identity_decomposerEEEvT1_T2_T3_T4_jPT5_SO_PNS1_23onesweep_lookback_stateET6_jjj
; %bb.0:
	s_load_dwordx4 s[68:71], s[4:5], 0x44
	s_load_dwordx8 s[56:63], s[4:5], 0x0
	s_load_dwordx4 s[64:67], s[4:5], 0x28
	s_load_dwordx2 s[72:73], s[4:5], 0x38
	s_mov_b32 s7, s6
	s_waitcnt lgkmcnt(0)
	s_cmp_ge_u32 s6, s70
	s_mul_i32 s54, s6, 0xc00
	v_mbcnt_lo_u32_b32 v1, -1, 0
	s_cbranch_scc0 .LBB14_129
; %bb.1:
	s_load_dword s2, s[4:5], 0x20
	s_mulk_i32 s70, 0xf400
	s_mov_b32 s55, 0
	s_lshl_b64 s[0:1], s[54:55], 3
	v_and_b32_e32 v2, 0x3ff, v0
	s_waitcnt lgkmcnt(0)
	s_add_i32 s70, s70, s2
	s_add_u32 s0, s56, s0
	v_mbcnt_hi_u32_b32 v32, -1, v1
	s_addc_u32 s1, s57, s1
	v_and_b32_e32 v3, 0xc0, v2
	v_lshlrev_b32_e32 v4, 3, v32
	v_mul_u32_u24_e32 v33, 12, v3
	v_mov_b32_e32 v5, s1
	v_add_co_u32_e32 v4, vcc, s0, v4
	v_addc_co_u32_e32 v5, vcc, 0, v5, vcc
	v_lshlrev_b32_e32 v6, 3, v33
	v_add_co_u32_e32 v28, vcc, v4, v6
	v_or_b32_e32 v4, v32, v33
	s_brev_b32 s9, 1
	s_mov_b32 s8, s55
	v_addc_co_u32_e32 v29, vcc, 0, v5, vcc
	v_cmp_gt_u32_e64 s[0:1], s70, v4
	v_pk_mov_b32 v[6:7], s[8:9], s[8:9] op_sel:[0,1]
	s_and_saveexec_b64 s[2:3], s[0:1]
	s_cbranch_execz .LBB14_3
; %bb.2:
	global_load_dwordx2 v[6:7], v[28:29], off
.LBB14_3:
	s_or_b64 exec, exec, s[2:3]
	v_add_u32_e32 v5, 64, v4
	v_cmp_gt_u32_e64 s[2:3], s70, v5
	v_pk_mov_b32 v[8:9], s[8:9], s[8:9] op_sel:[0,1]
	s_and_saveexec_b64 s[8:9], s[2:3]
	s_cbranch_execz .LBB14_5
; %bb.4:
	global_load_dwordx2 v[8:9], v[28:29], off offset:512
.LBB14_5:
	s_or_b64 exec, exec, s[8:9]
	s_mov_b32 s10, 0
	v_add_u32_e32 v5, 0x80, v4
	s_brev_b32 s11, 1
	v_cmp_gt_u32_e64 s[50:51], s70, v5
	v_pk_mov_b32 v[10:11], s[10:11], s[10:11] op_sel:[0,1]
	s_and_saveexec_b64 s[8:9], s[50:51]
	s_cbranch_execz .LBB14_7
; %bb.6:
	global_load_dwordx2 v[10:11], v[28:29], off offset:1024
.LBB14_7:
	s_or_b64 exec, exec, s[8:9]
	v_add_u32_e32 v5, 0xc0, v4
	v_cmp_gt_u32_e64 s[8:9], s70, v5
	v_pk_mov_b32 v[14:15], s[10:11], s[10:11] op_sel:[0,1]
	s_and_saveexec_b64 s[10:11], s[8:9]
	s_cbranch_execz .LBB14_9
; %bb.8:
	global_load_dwordx2 v[14:15], v[28:29], off offset:1536
.LBB14_9:
	s_or_b64 exec, exec, s[10:11]
	s_mov_b32 s14, 0
	v_add_u32_e32 v5, 0x100, v4
	s_brev_b32 s15, 1
	v_cmp_gt_u32_e64 s[10:11], s70, v5
	v_pk_mov_b32 v[18:19], s[14:15], s[14:15] op_sel:[0,1]
	s_and_saveexec_b64 s[12:13], s[10:11]
	s_cbranch_execz .LBB14_11
; %bb.10:
	global_load_dwordx2 v[18:19], v[28:29], off offset:2048
.LBB14_11:
	;; [unrolled: 20-line block ×3, first 2 shown]
	s_or_b64 exec, exec, s[16:17]
	v_add_u32_e32 v5, 0x1c0, v4
	v_cmp_gt_u32_e64 s[16:17], s70, v5
	v_pk_mov_b32 v[22:23], s[18:19], s[18:19] op_sel:[0,1]
	s_and_saveexec_b64 s[18:19], s[16:17]
	s_cbranch_execz .LBB14_17
; %bb.16:
	global_load_dwordx2 v[22:23], v[28:29], off offset:3584
.LBB14_17:
	s_or_b64 exec, exec, s[18:19]
	s_mov_b32 s22, 0
	v_add_u32_e32 v5, 0x200, v4
	s_brev_b32 s23, 1
	v_cmp_gt_u32_e64 s[18:19], s70, v5
	v_pk_mov_b32 v[20:21], s[22:23], s[22:23] op_sel:[0,1]
	s_and_saveexec_b64 s[20:21], s[18:19]
	s_cbranch_execz .LBB14_19
; %bb.18:
	v_add_co_u32_e32 v12, vcc, 0x1000, v28
	v_addc_co_u32_e32 v13, vcc, 0, v29, vcc
	global_load_dwordx2 v[20:21], v[12:13], off
.LBB14_19:
	s_or_b64 exec, exec, s[20:21]
	v_add_u32_e32 v5, 0x240, v4
	v_cmp_gt_u32_e64 s[20:21], s70, v5
	v_pk_mov_b32 v[16:17], s[22:23], s[22:23] op_sel:[0,1]
	s_and_saveexec_b64 s[22:23], s[20:21]
	s_cbranch_execz .LBB14_21
; %bb.20:
	v_add_co_u32_e32 v12, vcc, 0x1000, v28
	v_addc_co_u32_e32 v13, vcc, 0, v29, vcc
	global_load_dwordx2 v[16:17], v[12:13], off offset:512
.LBB14_21:
	s_or_b64 exec, exec, s[22:23]
	s_mov_b32 s26, 0
	v_add_u32_e32 v5, 0x280, v4
	s_brev_b32 s27, 1
	v_cmp_gt_u32_e64 s[22:23], s70, v5
	v_pk_mov_b32 v[12:13], s[26:27], s[26:27] op_sel:[0,1]
	s_and_saveexec_b64 s[24:25], s[22:23]
	s_cbranch_execz .LBB14_23
; %bb.22:
	v_add_co_u32_e32 v12, vcc, 0x1000, v28
	v_addc_co_u32_e32 v13, vcc, 0, v29, vcc
	global_load_dwordx2 v[12:13], v[12:13], off offset:1024
.LBB14_23:
	s_or_b64 exec, exec, s[24:25]
	v_add_u32_e32 v4, 0x2c0, v4
	v_cmp_gt_u32_e64 s[24:25], s70, v4
	v_pk_mov_b32 v[4:5], s[26:27], s[26:27] op_sel:[0,1]
	s_and_saveexec_b64 s[26:27], s[24:25]
	s_cbranch_execz .LBB14_25
; %bb.24:
	v_add_co_u32_e32 v4, vcc, 0x1000, v28
	v_addc_co_u32_e32 v5, vcc, 0, v29, vcc
	global_load_dwordx2 v[4:5], v[4:5], off offset:1536
.LBB14_25:
	s_or_b64 exec, exec, s[26:27]
	s_load_dword s26, s[4:5], 0x5c
	s_load_dword s33, s[4:5], 0x50
	s_add_u32 s27, s4, 0x50
	s_addc_u32 s28, s5, 0
	v_mov_b32_e32 v28, 0
	s_waitcnt lgkmcnt(0)
	s_lshr_b32 s29, s26, 16
	s_cmp_lt_u32 s6, s33
	s_cselect_b32 s26, 12, 18
	s_add_u32 s26, s27, s26
	s_addc_u32 s27, s28, 0
	global_load_ushort v35, v28, s[26:27]
	s_waitcnt vmcnt(1)
	v_xor_b32_e32 v7, 0x7fffffff, v7
	v_not_b32_e32 v6, v6
	v_mul_u32_u24_e32 v30, 5, v2
	s_lshl_b32 s26, -1, s69
	v_lshlrev_b32_e32 v34, 2, v30
	v_lshrrev_b64 v[30:31], s68, v[6:7]
	s_not_b32 s55, s26
	v_and_b32_e32 v30, s55, v30
	v_and_b32_e32 v37, 1, v30
	v_bfe_u32 v29, v0, 10, 10
	v_bfe_u32 v36, v0, 20, 10
	v_add_co_u32_e32 v38, vcc, -1, v37
	v_mad_u32_u24 v31, v36, s29, v29
	v_lshlrev_b32_e32 v29, 30, v30
	v_addc_co_u32_e64 v39, s[26:27], 0, -1, vcc
	v_cmp_ne_u32_e32 vcc, 0, v37
	v_cmp_gt_i64_e64 s[26:27], 0, v[28:29]
	v_not_b32_e32 v37, v29
	v_lshlrev_b32_e32 v29, 29, v30
	v_xor_b32_e32 v39, vcc_hi, v39
	v_xor_b32_e32 v38, vcc_lo, v38
	v_ashrrev_i32_e32 v37, 31, v37
	v_cmp_gt_i64_e32 vcc, 0, v[28:29]
	v_not_b32_e32 v40, v29
	v_lshlrev_b32_e32 v29, 28, v30
	v_and_b32_e32 v39, exec_hi, v39
	v_and_b32_e32 v38, exec_lo, v38
	v_xor_b32_e32 v41, s27, v37
	v_xor_b32_e32 v37, s26, v37
	v_ashrrev_i32_e32 v40, 31, v40
	v_cmp_gt_i64_e64 s[26:27], 0, v[28:29]
	v_not_b32_e32 v42, v29
	v_lshlrev_b32_e32 v29, 27, v30
	v_and_b32_e32 v39, v39, v41
	v_and_b32_e32 v37, v38, v37
	v_xor_b32_e32 v38, vcc_hi, v40
	v_xor_b32_e32 v40, vcc_lo, v40
	v_ashrrev_i32_e32 v41, 31, v42
	v_cmp_gt_i64_e32 vcc, 0, v[28:29]
	v_not_b32_e32 v42, v29
	v_lshlrev_b32_e32 v29, 26, v30
	v_and_b32_e32 v38, v39, v38
	v_and_b32_e32 v37, v37, v40
	v_xor_b32_e32 v39, s27, v41
	v_xor_b32_e32 v40, s26, v41
	v_ashrrev_i32_e32 v41, 31, v42
	v_cmp_gt_i64_e64 s[26:27], 0, v[28:29]
	v_not_b32_e32 v42, v29
	v_lshlrev_b32_e32 v29, 25, v30
	v_and_b32_e32 v38, v38, v39
	v_and_b32_e32 v37, v37, v40
	v_xor_b32_e32 v39, vcc_hi, v41
	v_xor_b32_e32 v40, vcc_lo, v41
	v_ashrrev_i32_e32 v41, 31, v42
	v_not_b32_e32 v42, v29
	v_lshl_add_u32 v36, v30, 2, v30
	v_cmp_gt_i64_e32 vcc, 0, v[28:29]
	v_lshlrev_b32_e32 v29, 24, v30
	v_and_b32_e32 v30, v38, v39
	v_and_b32_e32 v37, v37, v40
	v_xor_b32_e32 v38, s27, v41
	v_ashrrev_i32_e32 v40, 31, v42
	v_xor_b32_e32 v39, s26, v41
	v_cmp_gt_i64_e64 s[26:27], 0, v[28:29]
	v_and_b32_e32 v30, v30, v38
	v_xor_b32_e32 v38, vcc_hi, v40
	v_not_b32_e32 v29, v29
	v_and_b32_e32 v37, v37, v39
	v_xor_b32_e32 v39, vcc_lo, v40
	v_and_b32_e32 v38, v30, v38
	v_ashrrev_i32_e32 v29, 31, v29
	v_and_b32_e32 v37, v37, v39
	ds_write2_b32 v34, v28, v28 offset0:4 offset1:5
	ds_write2_b32 v34, v28, v28 offset0:6 offset1:7
	ds_write_b32 v34, v28 offset:32
	s_waitcnt lgkmcnt(0)
	s_barrier
	s_waitcnt vmcnt(0)
	v_mad_u64_u32 v[30:31], s[28:29], v31, v35, v[2:3]
	v_lshrrev_b32_e32 v43, 6, v30
	v_xor_b32_e32 v30, s27, v29
	v_xor_b32_e32 v29, s26, v29
	v_and_b32_e32 v31, v38, v30
	v_and_b32_e32 v30, v37, v29
	v_mbcnt_lo_u32_b32 v29, v30, 0
	v_mbcnt_hi_u32_b32 v35, v31, v29
	v_cmp_eq_u32_e32 vcc, 0, v35
	v_cmp_ne_u64_e64 s[26:27], 0, v[30:31]
	v_add_lshl_u32 v36, v43, v36, 2
	s_and_b64 s[28:29], s[26:27], vcc
	; wave barrier
	s_and_saveexec_b64 s[26:27], s[28:29]
	s_cbranch_execz .LBB14_27
; %bb.26:
	v_bcnt_u32_b32 v29, v30, 0
	v_bcnt_u32_b32 v29, v31, v29
	ds_write_b32 v36, v29 offset:16
.LBB14_27:
	s_or_b64 exec, exec, s[26:27]
	v_xor_b32_e32 v9, 0x7fffffff, v9
	v_not_b32_e32 v8, v8
	v_lshrrev_b64 v[30:31], s68, v[8:9]
	v_and_b32_e32 v30, s55, v30
	v_lshl_add_u32 v29, v30, 2, v30
	v_add_lshl_u32 v38, v43, v29, 2
	v_and_b32_e32 v29, 1, v30
	v_add_co_u32_e32 v31, vcc, -1, v29
	v_addc_co_u32_e64 v39, s[26:27], 0, -1, vcc
	v_cmp_ne_u32_e32 vcc, 0, v29
	v_xor_b32_e32 v29, vcc_hi, v39
	v_and_b32_e32 v39, exec_hi, v29
	v_lshlrev_b32_e32 v29, 30, v30
	v_xor_b32_e32 v31, vcc_lo, v31
	v_cmp_gt_i64_e32 vcc, 0, v[28:29]
	v_not_b32_e32 v29, v29
	v_ashrrev_i32_e32 v29, 31, v29
	v_and_b32_e32 v31, exec_lo, v31
	v_xor_b32_e32 v40, vcc_hi, v29
	v_xor_b32_e32 v29, vcc_lo, v29
	v_and_b32_e32 v31, v31, v29
	v_lshlrev_b32_e32 v29, 29, v30
	v_cmp_gt_i64_e32 vcc, 0, v[28:29]
	v_not_b32_e32 v29, v29
	v_ashrrev_i32_e32 v29, 31, v29
	v_and_b32_e32 v39, v39, v40
	v_xor_b32_e32 v40, vcc_hi, v29
	v_xor_b32_e32 v29, vcc_lo, v29
	v_and_b32_e32 v31, v31, v29
	v_lshlrev_b32_e32 v29, 28, v30
	v_cmp_gt_i64_e32 vcc, 0, v[28:29]
	v_not_b32_e32 v29, v29
	v_ashrrev_i32_e32 v29, 31, v29
	v_and_b32_e32 v39, v39, v40
	;; [unrolled: 8-line block ×5, first 2 shown]
	v_xor_b32_e32 v40, vcc_hi, v29
	v_xor_b32_e32 v29, vcc_lo, v29
	v_and_b32_e32 v31, v31, v29
	v_lshlrev_b32_e32 v29, 24, v30
	v_cmp_gt_i64_e32 vcc, 0, v[28:29]
	v_not_b32_e32 v28, v29
	v_ashrrev_i32_e32 v28, 31, v28
	v_xor_b32_e32 v29, vcc_hi, v28
	v_xor_b32_e32 v28, vcc_lo, v28
	; wave barrier
	ds_read_b32 v37, v38 offset:16
	v_and_b32_e32 v39, v39, v40
	v_and_b32_e32 v28, v31, v28
	;; [unrolled: 1-line block ×3, first 2 shown]
	v_mbcnt_lo_u32_b32 v30, v28, 0
	v_mbcnt_hi_u32_b32 v39, v29, v30
	v_cmp_eq_u32_e32 vcc, 0, v39
	v_cmp_ne_u64_e64 s[26:27], 0, v[28:29]
	s_and_b64 s[28:29], s[26:27], vcc
	; wave barrier
	s_and_saveexec_b64 s[26:27], s[28:29]
	s_cbranch_execz .LBB14_29
; %bb.28:
	v_bcnt_u32_b32 v28, v28, 0
	v_bcnt_u32_b32 v28, v29, v28
	s_waitcnt lgkmcnt(0)
	v_add_u32_e32 v28, v37, v28
	ds_write_b32 v38, v28 offset:16
.LBB14_29:
	s_or_b64 exec, exec, s[26:27]
	v_xor_b32_e32 v11, 0x7fffffff, v11
	v_not_b32_e32 v10, v10
	v_lshrrev_b64 v[28:29], s68, v[10:11]
	v_and_b32_e32 v30, s55, v28
	v_and_b32_e32 v29, 1, v30
	v_add_co_u32_e32 v31, vcc, -1, v29
	v_addc_co_u32_e64 v42, s[26:27], 0, -1, vcc
	v_cmp_ne_u32_e32 vcc, 0, v29
	v_lshl_add_u32 v28, v30, 2, v30
	v_xor_b32_e32 v29, vcc_hi, v42
	v_add_lshl_u32 v41, v43, v28, 2
	v_mov_b32_e32 v28, 0
	v_and_b32_e32 v42, exec_hi, v29
	v_lshlrev_b32_e32 v29, 30, v30
	v_xor_b32_e32 v31, vcc_lo, v31
	v_cmp_gt_i64_e32 vcc, 0, v[28:29]
	v_not_b32_e32 v29, v29
	v_ashrrev_i32_e32 v29, 31, v29
	v_and_b32_e32 v31, exec_lo, v31
	v_xor_b32_e32 v44, vcc_hi, v29
	v_xor_b32_e32 v29, vcc_lo, v29
	v_and_b32_e32 v31, v31, v29
	v_lshlrev_b32_e32 v29, 29, v30
	v_cmp_gt_i64_e32 vcc, 0, v[28:29]
	v_not_b32_e32 v29, v29
	v_ashrrev_i32_e32 v29, 31, v29
	v_and_b32_e32 v42, v42, v44
	v_xor_b32_e32 v44, vcc_hi, v29
	v_xor_b32_e32 v29, vcc_lo, v29
	v_and_b32_e32 v31, v31, v29
	v_lshlrev_b32_e32 v29, 28, v30
	v_cmp_gt_i64_e32 vcc, 0, v[28:29]
	v_not_b32_e32 v29, v29
	v_ashrrev_i32_e32 v29, 31, v29
	v_and_b32_e32 v42, v42, v44
	v_xor_b32_e32 v44, vcc_hi, v29
	v_xor_b32_e32 v29, vcc_lo, v29
	v_and_b32_e32 v31, v31, v29
	v_lshlrev_b32_e32 v29, 27, v30
	v_cmp_gt_i64_e32 vcc, 0, v[28:29]
	v_not_b32_e32 v29, v29
	v_ashrrev_i32_e32 v29, 31, v29
	v_and_b32_e32 v42, v42, v44
	v_xor_b32_e32 v44, vcc_hi, v29
	v_xor_b32_e32 v29, vcc_lo, v29
	v_and_b32_e32 v31, v31, v29
	v_lshlrev_b32_e32 v29, 26, v30
	v_cmp_gt_i64_e32 vcc, 0, v[28:29]
	v_not_b32_e32 v29, v29
	v_ashrrev_i32_e32 v29, 31, v29
	v_and_b32_e32 v42, v42, v44
	v_xor_b32_e32 v44, vcc_hi, v29
	v_xor_b32_e32 v29, vcc_lo, v29
	v_and_b32_e32 v31, v31, v29
	v_lshlrev_b32_e32 v29, 25, v30
	v_cmp_gt_i64_e32 vcc, 0, v[28:29]
	v_not_b32_e32 v29, v29
	v_ashrrev_i32_e32 v29, 31, v29
	v_and_b32_e32 v42, v42, v44
	v_xor_b32_e32 v44, vcc_hi, v29
	v_xor_b32_e32 v29, vcc_lo, v29
	v_and_b32_e32 v42, v42, v44
	v_and_b32_e32 v44, v31, v29
	v_lshlrev_b32_e32 v29, 24, v30
	v_cmp_gt_i64_e32 vcc, 0, v[28:29]
	v_not_b32_e32 v29, v29
	v_ashrrev_i32_e32 v29, 31, v29
	v_xor_b32_e32 v30, vcc_hi, v29
	v_xor_b32_e32 v29, vcc_lo, v29
	; wave barrier
	ds_read_b32 v40, v41 offset:16
	v_and_b32_e32 v31, v42, v30
	v_and_b32_e32 v30, v44, v29
	v_mbcnt_lo_u32_b32 v29, v30, 0
	v_mbcnt_hi_u32_b32 v42, v31, v29
	v_cmp_eq_u32_e32 vcc, 0, v42
	v_cmp_ne_u64_e64 s[26:27], 0, v[30:31]
	s_and_b64 s[28:29], s[26:27], vcc
	; wave barrier
	s_and_saveexec_b64 s[26:27], s[28:29]
	s_cbranch_execz .LBB14_31
; %bb.30:
	v_bcnt_u32_b32 v29, v30, 0
	v_bcnt_u32_b32 v29, v31, v29
	s_waitcnt lgkmcnt(0)
	v_add_u32_e32 v29, v40, v29
	ds_write_b32 v41, v29 offset:16
.LBB14_31:
	s_or_b64 exec, exec, s[26:27]
	v_xor_b32_e32 v15, 0x7fffffff, v15
	v_not_b32_e32 v14, v14
	v_lshrrev_b64 v[30:31], s68, v[14:15]
	v_and_b32_e32 v30, s55, v30
	v_lshl_add_u32 v29, v30, 2, v30
	v_add_lshl_u32 v45, v43, v29, 2
	v_and_b32_e32 v29, 1, v30
	v_add_co_u32_e32 v31, vcc, -1, v29
	v_addc_co_u32_e64 v46, s[26:27], 0, -1, vcc
	v_cmp_ne_u32_e32 vcc, 0, v29
	v_xor_b32_e32 v29, vcc_hi, v46
	v_and_b32_e32 v46, exec_hi, v29
	v_lshlrev_b32_e32 v29, 30, v30
	v_xor_b32_e32 v31, vcc_lo, v31
	v_cmp_gt_i64_e32 vcc, 0, v[28:29]
	v_not_b32_e32 v29, v29
	v_ashrrev_i32_e32 v29, 31, v29
	v_and_b32_e32 v31, exec_lo, v31
	v_xor_b32_e32 v47, vcc_hi, v29
	v_xor_b32_e32 v29, vcc_lo, v29
	v_and_b32_e32 v31, v31, v29
	v_lshlrev_b32_e32 v29, 29, v30
	v_cmp_gt_i64_e32 vcc, 0, v[28:29]
	v_not_b32_e32 v29, v29
	v_ashrrev_i32_e32 v29, 31, v29
	v_and_b32_e32 v46, v46, v47
	v_xor_b32_e32 v47, vcc_hi, v29
	v_xor_b32_e32 v29, vcc_lo, v29
	v_and_b32_e32 v31, v31, v29
	v_lshlrev_b32_e32 v29, 28, v30
	v_cmp_gt_i64_e32 vcc, 0, v[28:29]
	v_not_b32_e32 v29, v29
	v_ashrrev_i32_e32 v29, 31, v29
	v_and_b32_e32 v46, v46, v47
	;; [unrolled: 8-line block ×5, first 2 shown]
	v_xor_b32_e32 v47, vcc_hi, v29
	v_xor_b32_e32 v29, vcc_lo, v29
	v_and_b32_e32 v31, v31, v29
	v_lshlrev_b32_e32 v29, 24, v30
	v_cmp_gt_i64_e32 vcc, 0, v[28:29]
	v_not_b32_e32 v28, v29
	v_ashrrev_i32_e32 v28, 31, v28
	v_xor_b32_e32 v29, vcc_hi, v28
	v_xor_b32_e32 v28, vcc_lo, v28
	; wave barrier
	ds_read_b32 v44, v45 offset:16
	v_and_b32_e32 v46, v46, v47
	v_and_b32_e32 v28, v31, v28
	v_and_b32_e32 v29, v46, v29
	v_mbcnt_lo_u32_b32 v30, v28, 0
	v_mbcnt_hi_u32_b32 v46, v29, v30
	v_cmp_eq_u32_e32 vcc, 0, v46
	v_cmp_ne_u64_e64 s[26:27], 0, v[28:29]
	s_and_b64 s[28:29], s[26:27], vcc
	; wave barrier
	s_and_saveexec_b64 s[26:27], s[28:29]
	s_cbranch_execz .LBB14_33
; %bb.32:
	v_bcnt_u32_b32 v28, v28, 0
	v_bcnt_u32_b32 v28, v29, v28
	s_waitcnt lgkmcnt(0)
	v_add_u32_e32 v28, v44, v28
	ds_write_b32 v45, v28 offset:16
.LBB14_33:
	s_or_b64 exec, exec, s[26:27]
	v_xor_b32_e32 v19, 0x7fffffff, v19
	v_not_b32_e32 v18, v18
	v_lshrrev_b64 v[28:29], s68, v[18:19]
	v_and_b32_e32 v30, s55, v28
	v_and_b32_e32 v29, 1, v30
	v_add_co_u32_e32 v31, vcc, -1, v29
	v_addc_co_u32_e64 v49, s[26:27], 0, -1, vcc
	v_cmp_ne_u32_e32 vcc, 0, v29
	v_lshl_add_u32 v28, v30, 2, v30
	v_xor_b32_e32 v29, vcc_hi, v49
	v_add_lshl_u32 v48, v43, v28, 2
	v_mov_b32_e32 v28, 0
	v_and_b32_e32 v49, exec_hi, v29
	v_lshlrev_b32_e32 v29, 30, v30
	v_xor_b32_e32 v31, vcc_lo, v31
	v_cmp_gt_i64_e32 vcc, 0, v[28:29]
	v_not_b32_e32 v29, v29
	v_ashrrev_i32_e32 v29, 31, v29
	v_and_b32_e32 v31, exec_lo, v31
	v_xor_b32_e32 v50, vcc_hi, v29
	v_xor_b32_e32 v29, vcc_lo, v29
	v_and_b32_e32 v31, v31, v29
	v_lshlrev_b32_e32 v29, 29, v30
	v_cmp_gt_i64_e32 vcc, 0, v[28:29]
	v_not_b32_e32 v29, v29
	v_ashrrev_i32_e32 v29, 31, v29
	v_and_b32_e32 v49, v49, v50
	v_xor_b32_e32 v50, vcc_hi, v29
	v_xor_b32_e32 v29, vcc_lo, v29
	v_and_b32_e32 v31, v31, v29
	v_lshlrev_b32_e32 v29, 28, v30
	v_cmp_gt_i64_e32 vcc, 0, v[28:29]
	v_not_b32_e32 v29, v29
	v_ashrrev_i32_e32 v29, 31, v29
	v_and_b32_e32 v49, v49, v50
	;; [unrolled: 8-line block ×5, first 2 shown]
	v_xor_b32_e32 v50, vcc_hi, v29
	v_xor_b32_e32 v29, vcc_lo, v29
	v_and_b32_e32 v49, v49, v50
	v_and_b32_e32 v50, v31, v29
	v_lshlrev_b32_e32 v29, 24, v30
	v_cmp_gt_i64_e32 vcc, 0, v[28:29]
	v_not_b32_e32 v29, v29
	v_ashrrev_i32_e32 v29, 31, v29
	v_xor_b32_e32 v30, vcc_hi, v29
	v_xor_b32_e32 v29, vcc_lo, v29
	; wave barrier
	ds_read_b32 v47, v48 offset:16
	v_and_b32_e32 v31, v49, v30
	v_and_b32_e32 v30, v50, v29
	v_mbcnt_lo_u32_b32 v29, v30, 0
	v_mbcnt_hi_u32_b32 v49, v31, v29
	v_cmp_eq_u32_e32 vcc, 0, v49
	v_cmp_ne_u64_e64 s[26:27], 0, v[30:31]
	s_and_b64 s[28:29], s[26:27], vcc
	; wave barrier
	s_and_saveexec_b64 s[26:27], s[28:29]
	s_cbranch_execz .LBB14_35
; %bb.34:
	v_bcnt_u32_b32 v29, v30, 0
	v_bcnt_u32_b32 v29, v31, v29
	s_waitcnt lgkmcnt(0)
	v_add_u32_e32 v29, v47, v29
	ds_write_b32 v48, v29 offset:16
.LBB14_35:
	s_or_b64 exec, exec, s[26:27]
	v_xor_b32_e32 v25, 0x7fffffff, v25
	v_not_b32_e32 v24, v24
	v_lshrrev_b64 v[30:31], s68, v[24:25]
	v_and_b32_e32 v30, s55, v30
	v_lshl_add_u32 v29, v30, 2, v30
	v_add_lshl_u32 v51, v43, v29, 2
	v_and_b32_e32 v29, 1, v30
	v_add_co_u32_e32 v31, vcc, -1, v29
	v_addc_co_u32_e64 v52, s[26:27], 0, -1, vcc
	v_cmp_ne_u32_e32 vcc, 0, v29
	v_xor_b32_e32 v29, vcc_hi, v52
	v_and_b32_e32 v52, exec_hi, v29
	v_lshlrev_b32_e32 v29, 30, v30
	v_xor_b32_e32 v31, vcc_lo, v31
	v_cmp_gt_i64_e32 vcc, 0, v[28:29]
	v_not_b32_e32 v29, v29
	v_ashrrev_i32_e32 v29, 31, v29
	v_and_b32_e32 v31, exec_lo, v31
	v_xor_b32_e32 v53, vcc_hi, v29
	v_xor_b32_e32 v29, vcc_lo, v29
	v_and_b32_e32 v31, v31, v29
	v_lshlrev_b32_e32 v29, 29, v30
	v_cmp_gt_i64_e32 vcc, 0, v[28:29]
	v_not_b32_e32 v29, v29
	v_ashrrev_i32_e32 v29, 31, v29
	v_and_b32_e32 v52, v52, v53
	v_xor_b32_e32 v53, vcc_hi, v29
	v_xor_b32_e32 v29, vcc_lo, v29
	v_and_b32_e32 v31, v31, v29
	v_lshlrev_b32_e32 v29, 28, v30
	v_cmp_gt_i64_e32 vcc, 0, v[28:29]
	v_not_b32_e32 v29, v29
	v_ashrrev_i32_e32 v29, 31, v29
	v_and_b32_e32 v52, v52, v53
	;; [unrolled: 8-line block ×5, first 2 shown]
	v_xor_b32_e32 v53, vcc_hi, v29
	v_xor_b32_e32 v29, vcc_lo, v29
	v_and_b32_e32 v31, v31, v29
	v_lshlrev_b32_e32 v29, 24, v30
	v_cmp_gt_i64_e32 vcc, 0, v[28:29]
	v_not_b32_e32 v28, v29
	v_ashrrev_i32_e32 v28, 31, v28
	v_xor_b32_e32 v29, vcc_hi, v28
	v_xor_b32_e32 v28, vcc_lo, v28
	; wave barrier
	ds_read_b32 v50, v51 offset:16
	v_and_b32_e32 v52, v52, v53
	v_and_b32_e32 v28, v31, v28
	;; [unrolled: 1-line block ×3, first 2 shown]
	v_mbcnt_lo_u32_b32 v30, v28, 0
	v_mbcnt_hi_u32_b32 v52, v29, v30
	v_cmp_eq_u32_e32 vcc, 0, v52
	v_cmp_ne_u64_e64 s[26:27], 0, v[28:29]
	s_and_b64 s[28:29], s[26:27], vcc
	; wave barrier
	s_and_saveexec_b64 s[26:27], s[28:29]
	s_cbranch_execz .LBB14_37
; %bb.36:
	v_bcnt_u32_b32 v28, v28, 0
	v_bcnt_u32_b32 v28, v29, v28
	s_waitcnt lgkmcnt(0)
	v_add_u32_e32 v28, v50, v28
	ds_write_b32 v51, v28 offset:16
.LBB14_37:
	s_or_b64 exec, exec, s[26:27]
	v_xor_b32_e32 v27, 0x7fffffff, v27
	v_not_b32_e32 v26, v26
	v_lshrrev_b64 v[28:29], s68, v[26:27]
	v_and_b32_e32 v30, s55, v28
	v_and_b32_e32 v29, 1, v30
	v_add_co_u32_e32 v31, vcc, -1, v29
	v_addc_co_u32_e64 v55, s[26:27], 0, -1, vcc
	v_cmp_ne_u32_e32 vcc, 0, v29
	v_lshl_add_u32 v28, v30, 2, v30
	v_xor_b32_e32 v29, vcc_hi, v55
	v_add_lshl_u32 v54, v43, v28, 2
	v_mov_b32_e32 v28, 0
	v_and_b32_e32 v55, exec_hi, v29
	v_lshlrev_b32_e32 v29, 30, v30
	v_xor_b32_e32 v31, vcc_lo, v31
	v_cmp_gt_i64_e32 vcc, 0, v[28:29]
	v_not_b32_e32 v29, v29
	v_ashrrev_i32_e32 v29, 31, v29
	v_and_b32_e32 v31, exec_lo, v31
	v_xor_b32_e32 v56, vcc_hi, v29
	v_xor_b32_e32 v29, vcc_lo, v29
	v_and_b32_e32 v31, v31, v29
	v_lshlrev_b32_e32 v29, 29, v30
	v_cmp_gt_i64_e32 vcc, 0, v[28:29]
	v_not_b32_e32 v29, v29
	v_ashrrev_i32_e32 v29, 31, v29
	v_and_b32_e32 v55, v55, v56
	v_xor_b32_e32 v56, vcc_hi, v29
	v_xor_b32_e32 v29, vcc_lo, v29
	v_and_b32_e32 v31, v31, v29
	v_lshlrev_b32_e32 v29, 28, v30
	v_cmp_gt_i64_e32 vcc, 0, v[28:29]
	v_not_b32_e32 v29, v29
	v_ashrrev_i32_e32 v29, 31, v29
	v_and_b32_e32 v55, v55, v56
	;; [unrolled: 8-line block ×5, first 2 shown]
	v_xor_b32_e32 v56, vcc_hi, v29
	v_xor_b32_e32 v29, vcc_lo, v29
	v_and_b32_e32 v55, v55, v56
	v_and_b32_e32 v56, v31, v29
	v_lshlrev_b32_e32 v29, 24, v30
	v_cmp_gt_i64_e32 vcc, 0, v[28:29]
	v_not_b32_e32 v29, v29
	v_ashrrev_i32_e32 v29, 31, v29
	v_xor_b32_e32 v30, vcc_hi, v29
	v_xor_b32_e32 v29, vcc_lo, v29
	; wave barrier
	ds_read_b32 v53, v54 offset:16
	v_and_b32_e32 v31, v55, v30
	v_and_b32_e32 v30, v56, v29
	v_mbcnt_lo_u32_b32 v29, v30, 0
	v_mbcnt_hi_u32_b32 v55, v31, v29
	v_cmp_eq_u32_e32 vcc, 0, v55
	v_cmp_ne_u64_e64 s[26:27], 0, v[30:31]
	s_and_b64 s[28:29], s[26:27], vcc
	; wave barrier
	s_and_saveexec_b64 s[26:27], s[28:29]
	s_cbranch_execz .LBB14_39
; %bb.38:
	v_bcnt_u32_b32 v29, v30, 0
	v_bcnt_u32_b32 v29, v31, v29
	s_waitcnt lgkmcnt(0)
	v_add_u32_e32 v29, v53, v29
	ds_write_b32 v54, v29 offset:16
.LBB14_39:
	s_or_b64 exec, exec, s[26:27]
	v_xor_b32_e32 v23, 0x7fffffff, v23
	v_not_b32_e32 v22, v22
	v_lshrrev_b64 v[30:31], s68, v[22:23]
	v_and_b32_e32 v30, s55, v30
	v_lshl_add_u32 v29, v30, 2, v30
	v_add_lshl_u32 v57, v43, v29, 2
	v_and_b32_e32 v29, 1, v30
	v_add_co_u32_e32 v31, vcc, -1, v29
	v_addc_co_u32_e64 v58, s[26:27], 0, -1, vcc
	v_cmp_ne_u32_e32 vcc, 0, v29
	v_xor_b32_e32 v29, vcc_hi, v58
	v_and_b32_e32 v58, exec_hi, v29
	v_lshlrev_b32_e32 v29, 30, v30
	v_xor_b32_e32 v31, vcc_lo, v31
	v_cmp_gt_i64_e32 vcc, 0, v[28:29]
	v_not_b32_e32 v29, v29
	v_ashrrev_i32_e32 v29, 31, v29
	v_and_b32_e32 v31, exec_lo, v31
	v_xor_b32_e32 v59, vcc_hi, v29
	v_xor_b32_e32 v29, vcc_lo, v29
	v_and_b32_e32 v31, v31, v29
	v_lshlrev_b32_e32 v29, 29, v30
	v_cmp_gt_i64_e32 vcc, 0, v[28:29]
	v_not_b32_e32 v29, v29
	v_ashrrev_i32_e32 v29, 31, v29
	v_and_b32_e32 v58, v58, v59
	v_xor_b32_e32 v59, vcc_hi, v29
	v_xor_b32_e32 v29, vcc_lo, v29
	v_and_b32_e32 v31, v31, v29
	v_lshlrev_b32_e32 v29, 28, v30
	v_cmp_gt_i64_e32 vcc, 0, v[28:29]
	v_not_b32_e32 v29, v29
	v_ashrrev_i32_e32 v29, 31, v29
	v_and_b32_e32 v58, v58, v59
	;; [unrolled: 8-line block ×5, first 2 shown]
	v_xor_b32_e32 v59, vcc_hi, v29
	v_xor_b32_e32 v29, vcc_lo, v29
	v_and_b32_e32 v31, v31, v29
	v_lshlrev_b32_e32 v29, 24, v30
	v_cmp_gt_i64_e32 vcc, 0, v[28:29]
	v_not_b32_e32 v28, v29
	v_ashrrev_i32_e32 v28, 31, v28
	v_xor_b32_e32 v29, vcc_hi, v28
	v_xor_b32_e32 v28, vcc_lo, v28
	; wave barrier
	ds_read_b32 v56, v57 offset:16
	v_and_b32_e32 v58, v58, v59
	v_and_b32_e32 v28, v31, v28
	;; [unrolled: 1-line block ×3, first 2 shown]
	v_mbcnt_lo_u32_b32 v30, v28, 0
	v_mbcnt_hi_u32_b32 v58, v29, v30
	v_cmp_eq_u32_e32 vcc, 0, v58
	v_cmp_ne_u64_e64 s[26:27], 0, v[28:29]
	s_and_b64 s[28:29], s[26:27], vcc
	; wave barrier
	s_and_saveexec_b64 s[26:27], s[28:29]
	s_cbranch_execz .LBB14_41
; %bb.40:
	v_bcnt_u32_b32 v28, v28, 0
	v_bcnt_u32_b32 v28, v29, v28
	s_waitcnt lgkmcnt(0)
	v_add_u32_e32 v28, v56, v28
	ds_write_b32 v57, v28 offset:16
.LBB14_41:
	s_or_b64 exec, exec, s[26:27]
	v_xor_b32_e32 v21, 0x7fffffff, v21
	v_not_b32_e32 v20, v20
	v_lshrrev_b64 v[28:29], s68, v[20:21]
	v_and_b32_e32 v30, s55, v28
	v_and_b32_e32 v29, 1, v30
	v_add_co_u32_e32 v31, vcc, -1, v29
	v_addc_co_u32_e64 v61, s[26:27], 0, -1, vcc
	v_cmp_ne_u32_e32 vcc, 0, v29
	v_lshl_add_u32 v28, v30, 2, v30
	v_xor_b32_e32 v29, vcc_hi, v61
	v_add_lshl_u32 v60, v43, v28, 2
	v_mov_b32_e32 v28, 0
	v_and_b32_e32 v61, exec_hi, v29
	v_lshlrev_b32_e32 v29, 30, v30
	v_xor_b32_e32 v31, vcc_lo, v31
	v_cmp_gt_i64_e32 vcc, 0, v[28:29]
	v_not_b32_e32 v29, v29
	v_ashrrev_i32_e32 v29, 31, v29
	v_and_b32_e32 v31, exec_lo, v31
	v_xor_b32_e32 v62, vcc_hi, v29
	v_xor_b32_e32 v29, vcc_lo, v29
	v_and_b32_e32 v31, v31, v29
	v_lshlrev_b32_e32 v29, 29, v30
	v_cmp_gt_i64_e32 vcc, 0, v[28:29]
	v_not_b32_e32 v29, v29
	v_ashrrev_i32_e32 v29, 31, v29
	v_and_b32_e32 v61, v61, v62
	v_xor_b32_e32 v62, vcc_hi, v29
	v_xor_b32_e32 v29, vcc_lo, v29
	v_and_b32_e32 v31, v31, v29
	v_lshlrev_b32_e32 v29, 28, v30
	v_cmp_gt_i64_e32 vcc, 0, v[28:29]
	v_not_b32_e32 v29, v29
	v_ashrrev_i32_e32 v29, 31, v29
	v_and_b32_e32 v61, v61, v62
	;; [unrolled: 8-line block ×5, first 2 shown]
	v_xor_b32_e32 v62, vcc_hi, v29
	v_xor_b32_e32 v29, vcc_lo, v29
	v_and_b32_e32 v61, v61, v62
	v_and_b32_e32 v62, v31, v29
	v_lshlrev_b32_e32 v29, 24, v30
	v_cmp_gt_i64_e32 vcc, 0, v[28:29]
	v_not_b32_e32 v29, v29
	v_ashrrev_i32_e32 v29, 31, v29
	v_xor_b32_e32 v30, vcc_hi, v29
	v_xor_b32_e32 v29, vcc_lo, v29
	; wave barrier
	ds_read_b32 v59, v60 offset:16
	v_and_b32_e32 v31, v61, v30
	v_and_b32_e32 v30, v62, v29
	v_mbcnt_lo_u32_b32 v29, v30, 0
	v_mbcnt_hi_u32_b32 v61, v31, v29
	v_cmp_eq_u32_e32 vcc, 0, v61
	v_cmp_ne_u64_e64 s[26:27], 0, v[30:31]
	s_and_b64 s[28:29], s[26:27], vcc
	; wave barrier
	s_and_saveexec_b64 s[26:27], s[28:29]
	s_cbranch_execz .LBB14_43
; %bb.42:
	v_bcnt_u32_b32 v29, v30, 0
	v_bcnt_u32_b32 v29, v31, v29
	s_waitcnt lgkmcnt(0)
	v_add_u32_e32 v29, v59, v29
	ds_write_b32 v60, v29 offset:16
.LBB14_43:
	s_or_b64 exec, exec, s[26:27]
	v_xor_b32_e32 v17, 0x7fffffff, v17
	v_not_b32_e32 v16, v16
	v_lshrrev_b64 v[30:31], s68, v[16:17]
	v_and_b32_e32 v30, s55, v30
	v_lshl_add_u32 v29, v30, 2, v30
	v_add_lshl_u32 v63, v43, v29, 2
	v_and_b32_e32 v29, 1, v30
	v_add_co_u32_e32 v31, vcc, -1, v29
	v_addc_co_u32_e64 v64, s[26:27], 0, -1, vcc
	v_cmp_ne_u32_e32 vcc, 0, v29
	v_xor_b32_e32 v29, vcc_hi, v64
	v_and_b32_e32 v64, exec_hi, v29
	v_lshlrev_b32_e32 v29, 30, v30
	v_xor_b32_e32 v31, vcc_lo, v31
	v_cmp_gt_i64_e32 vcc, 0, v[28:29]
	v_not_b32_e32 v29, v29
	v_ashrrev_i32_e32 v29, 31, v29
	v_and_b32_e32 v31, exec_lo, v31
	v_xor_b32_e32 v65, vcc_hi, v29
	v_xor_b32_e32 v29, vcc_lo, v29
	v_and_b32_e32 v31, v31, v29
	v_lshlrev_b32_e32 v29, 29, v30
	v_cmp_gt_i64_e32 vcc, 0, v[28:29]
	v_not_b32_e32 v29, v29
	v_ashrrev_i32_e32 v29, 31, v29
	v_and_b32_e32 v64, v64, v65
	v_xor_b32_e32 v65, vcc_hi, v29
	v_xor_b32_e32 v29, vcc_lo, v29
	v_and_b32_e32 v31, v31, v29
	v_lshlrev_b32_e32 v29, 28, v30
	v_cmp_gt_i64_e32 vcc, 0, v[28:29]
	v_not_b32_e32 v29, v29
	v_ashrrev_i32_e32 v29, 31, v29
	v_and_b32_e32 v64, v64, v65
	;; [unrolled: 8-line block ×5, first 2 shown]
	v_xor_b32_e32 v65, vcc_hi, v29
	v_xor_b32_e32 v29, vcc_lo, v29
	v_and_b32_e32 v31, v31, v29
	v_lshlrev_b32_e32 v29, 24, v30
	v_cmp_gt_i64_e32 vcc, 0, v[28:29]
	v_not_b32_e32 v28, v29
	v_ashrrev_i32_e32 v28, 31, v28
	v_xor_b32_e32 v29, vcc_hi, v28
	v_xor_b32_e32 v28, vcc_lo, v28
	; wave barrier
	ds_read_b32 v62, v63 offset:16
	v_and_b32_e32 v64, v64, v65
	v_and_b32_e32 v28, v31, v28
	v_and_b32_e32 v29, v64, v29
	v_mbcnt_lo_u32_b32 v30, v28, 0
	v_mbcnt_hi_u32_b32 v64, v29, v30
	v_cmp_eq_u32_e32 vcc, 0, v64
	v_cmp_ne_u64_e64 s[26:27], 0, v[28:29]
	s_and_b64 s[28:29], s[26:27], vcc
	; wave barrier
	s_and_saveexec_b64 s[26:27], s[28:29]
	s_cbranch_execz .LBB14_45
; %bb.44:
	v_bcnt_u32_b32 v28, v28, 0
	v_bcnt_u32_b32 v28, v29, v28
	s_waitcnt lgkmcnt(0)
	v_add_u32_e32 v28, v62, v28
	ds_write_b32 v63, v28 offset:16
.LBB14_45:
	s_or_b64 exec, exec, s[26:27]
	v_xor_b32_e32 v13, 0x7fffffff, v13
	v_not_b32_e32 v12, v12
	v_lshrrev_b64 v[28:29], s68, v[12:13]
	v_and_b32_e32 v28, s55, v28
	v_lshl_add_u32 v29, v28, 2, v28
	v_add_lshl_u32 v66, v43, v29, 2
	v_and_b32_e32 v29, 1, v28
	v_add_co_u32_e32 v31, vcc, -1, v29
	v_addc_co_u32_e64 v67, s[26:27], 0, -1, vcc
	v_cmp_ne_u32_e32 vcc, 0, v29
	v_xor_b32_e32 v31, vcc_lo, v31
	v_mov_b32_e32 v30, 0
	v_xor_b32_e32 v29, vcc_hi, v67
	v_and_b32_e32 v67, exec_lo, v31
	v_lshlrev_b32_e32 v31, 30, v28
	v_cmp_gt_i64_e32 vcc, 0, v[30:31]
	v_not_b32_e32 v31, v31
	v_ashrrev_i32_e32 v31, 31, v31
	v_xor_b32_e32 v68, vcc_hi, v31
	v_xor_b32_e32 v31, vcc_lo, v31
	v_and_b32_e32 v67, v67, v31
	v_lshlrev_b32_e32 v31, 29, v28
	v_cmp_gt_i64_e32 vcc, 0, v[30:31]
	v_not_b32_e32 v31, v31
	v_and_b32_e32 v29, exec_hi, v29
	v_ashrrev_i32_e32 v31, 31, v31
	v_and_b32_e32 v29, v29, v68
	v_xor_b32_e32 v68, vcc_hi, v31
	v_xor_b32_e32 v31, vcc_lo, v31
	v_and_b32_e32 v67, v67, v31
	v_lshlrev_b32_e32 v31, 28, v28
	v_cmp_gt_i64_e32 vcc, 0, v[30:31]
	v_not_b32_e32 v31, v31
	v_ashrrev_i32_e32 v31, 31, v31
	v_and_b32_e32 v29, v29, v68
	v_xor_b32_e32 v68, vcc_hi, v31
	v_xor_b32_e32 v31, vcc_lo, v31
	v_and_b32_e32 v67, v67, v31
	v_lshlrev_b32_e32 v31, 27, v28
	v_cmp_gt_i64_e32 vcc, 0, v[30:31]
	v_not_b32_e32 v31, v31
	;; [unrolled: 8-line block ×4, first 2 shown]
	v_ashrrev_i32_e32 v31, 31, v31
	v_and_b32_e32 v29, v29, v68
	v_xor_b32_e32 v68, vcc_hi, v31
	v_xor_b32_e32 v31, vcc_lo, v31
	v_and_b32_e32 v67, v67, v31
	v_lshlrev_b32_e32 v31, 24, v28
	v_not_b32_e32 v28, v31
	v_cmp_gt_i64_e32 vcc, 0, v[30:31]
	v_ashrrev_i32_e32 v28, 31, v28
	v_xor_b32_e32 v31, vcc_hi, v28
	v_xor_b32_e32 v28, vcc_lo, v28
	; wave barrier
	ds_read_b32 v65, v66 offset:16
	v_and_b32_e32 v29, v29, v68
	v_and_b32_e32 v28, v67, v28
	;; [unrolled: 1-line block ×3, first 2 shown]
	v_mbcnt_lo_u32_b32 v31, v28, 0
	v_mbcnt_hi_u32_b32 v67, v29, v31
	v_cmp_eq_u32_e32 vcc, 0, v67
	v_cmp_ne_u64_e64 s[26:27], 0, v[28:29]
	s_and_b64 s[28:29], s[26:27], vcc
	; wave barrier
	s_and_saveexec_b64 s[26:27], s[28:29]
	s_cbranch_execz .LBB14_47
; %bb.46:
	v_bcnt_u32_b32 v28, v28, 0
	v_bcnt_u32_b32 v28, v29, v28
	s_waitcnt lgkmcnt(0)
	v_add_u32_e32 v28, v65, v28
	ds_write_b32 v66, v28 offset:16
.LBB14_47:
	s_or_b64 exec, exec, s[26:27]
	v_xor_b32_e32 v29, 0x7fffffff, v5
	v_not_b32_e32 v28, v4
	v_lshrrev_b64 v[4:5], s68, v[28:29]
	v_and_b32_e32 v4, s55, v4
	v_lshl_add_u32 v5, v4, 2, v4
	v_add_lshl_u32 v68, v43, v5, 2
	v_and_b32_e32 v5, 1, v4
	v_add_co_u32_e32 v31, vcc, -1, v5
	v_addc_co_u32_e64 v70, s[26:27], 0, -1, vcc
	v_cmp_ne_u32_e32 vcc, 0, v5
	v_xor_b32_e32 v31, vcc_lo, v31
	v_xor_b32_e32 v5, vcc_hi, v70
	v_and_b32_e32 v70, exec_lo, v31
	v_lshlrev_b32_e32 v31, 30, v4
	v_cmp_gt_i64_e32 vcc, 0, v[30:31]
	v_not_b32_e32 v31, v31
	v_ashrrev_i32_e32 v31, 31, v31
	v_xor_b32_e32 v71, vcc_hi, v31
	v_xor_b32_e32 v31, vcc_lo, v31
	v_and_b32_e32 v70, v70, v31
	v_lshlrev_b32_e32 v31, 29, v4
	v_cmp_gt_i64_e32 vcc, 0, v[30:31]
	v_not_b32_e32 v31, v31
	v_and_b32_e32 v5, exec_hi, v5
	v_ashrrev_i32_e32 v31, 31, v31
	v_and_b32_e32 v5, v5, v71
	v_xor_b32_e32 v71, vcc_hi, v31
	v_xor_b32_e32 v31, vcc_lo, v31
	v_and_b32_e32 v70, v70, v31
	v_lshlrev_b32_e32 v31, 28, v4
	v_cmp_gt_i64_e32 vcc, 0, v[30:31]
	v_not_b32_e32 v31, v31
	v_ashrrev_i32_e32 v31, 31, v31
	v_and_b32_e32 v5, v5, v71
	v_xor_b32_e32 v71, vcc_hi, v31
	v_xor_b32_e32 v31, vcc_lo, v31
	v_and_b32_e32 v70, v70, v31
	v_lshlrev_b32_e32 v31, 27, v4
	v_cmp_gt_i64_e32 vcc, 0, v[30:31]
	v_not_b32_e32 v31, v31
	;; [unrolled: 8-line block ×4, first 2 shown]
	v_ashrrev_i32_e32 v31, 31, v31
	v_and_b32_e32 v5, v5, v71
	v_xor_b32_e32 v71, vcc_hi, v31
	v_xor_b32_e32 v31, vcc_lo, v31
	v_and_b32_e32 v70, v70, v31
	v_lshlrev_b32_e32 v31, 24, v4
	v_not_b32_e32 v4, v31
	v_cmp_gt_i64_e32 vcc, 0, v[30:31]
	v_ashrrev_i32_e32 v4, 31, v4
	v_xor_b32_e32 v30, vcc_hi, v4
	v_xor_b32_e32 v4, vcc_lo, v4
	; wave barrier
	ds_read_b32 v43, v68 offset:16
	v_and_b32_e32 v5, v5, v71
	v_and_b32_e32 v4, v70, v4
	v_and_b32_e32 v5, v5, v30
	v_mbcnt_lo_u32_b32 v30, v4, 0
	v_mbcnt_hi_u32_b32 v70, v5, v30
	v_cmp_eq_u32_e32 vcc, 0, v70
	v_cmp_ne_u64_e64 s[26:27], 0, v[4:5]
	v_add_u32_e32 v69, 16, v34
	s_and_b64 s[28:29], s[26:27], vcc
	; wave barrier
	s_and_saveexec_b64 s[26:27], s[28:29]
	s_cbranch_execz .LBB14_49
; %bb.48:
	v_bcnt_u32_b32 v4, v4, 0
	v_bcnt_u32_b32 v4, v5, v4
	s_waitcnt lgkmcnt(0)
	v_add_u32_e32 v4, v43, v4
	ds_write_b32 v68, v4 offset:16
.LBB14_49:
	s_or_b64 exec, exec, s[26:27]
	; wave barrier
	s_waitcnt lgkmcnt(0)
	s_barrier
	ds_read2_b32 v[30:31], v34 offset0:4 offset1:5
	ds_read2_b32 v[4:5], v69 offset0:2 offset1:3
	ds_read_b32 v71, v69 offset:16
	v_min_u32_e32 v3, 0xc0, v3
	v_or_b32_e32 v3, 63, v3
	s_waitcnt lgkmcnt(1)
	v_add3_u32 v72, v31, v30, v4
	s_waitcnt lgkmcnt(0)
	v_add3_u32 v71, v72, v5, v71
	v_and_b32_e32 v72, 15, v32
	v_cmp_ne_u32_e32 vcc, 0, v72
	v_mov_b32_dpp v73, v71 row_shr:1 row_mask:0xf bank_mask:0xf
	v_cndmask_b32_e32 v73, 0, v73, vcc
	v_add_u32_e32 v71, v73, v71
	v_cmp_lt_u32_e32 vcc, 1, v72
	s_nop 0
	v_mov_b32_dpp v73, v71 row_shr:2 row_mask:0xf bank_mask:0xf
	v_cndmask_b32_e32 v73, 0, v73, vcc
	v_add_u32_e32 v71, v71, v73
	v_cmp_lt_u32_e32 vcc, 3, v72
	s_nop 0
	;; [unrolled: 5-line block ×3, first 2 shown]
	v_mov_b32_dpp v73, v71 row_shr:8 row_mask:0xf bank_mask:0xf
	v_cndmask_b32_e32 v72, 0, v73, vcc
	v_add_u32_e32 v71, v71, v72
	v_bfe_i32 v73, v32, 4, 1
	v_cmp_lt_u32_e32 vcc, 31, v32
	v_mov_b32_dpp v72, v71 row_bcast:15 row_mask:0xf bank_mask:0xf
	v_and_b32_e32 v72, v73, v72
	v_add_u32_e32 v71, v71, v72
	s_nop 1
	v_mov_b32_dpp v72, v71 row_bcast:31 row_mask:0xf bank_mask:0xf
	v_cndmask_b32_e32 v72, 0, v72, vcc
	v_add_u32_e32 v71, v71, v72
	v_lshrrev_b32_e32 v72, 6, v2
	v_cmp_eq_u32_e32 vcc, v3, v2
	s_and_saveexec_b64 s[26:27], vcc
	s_cbranch_execz .LBB14_51
; %bb.50:
	v_lshlrev_b32_e32 v3, 2, v72
	ds_write_b32 v3, v71
.LBB14_51:
	s_or_b64 exec, exec, s[26:27]
	v_cmp_gt_u32_e32 vcc, 4, v2
	s_waitcnt lgkmcnt(0)
	s_barrier
	s_and_saveexec_b64 s[26:27], vcc
	s_cbranch_execz .LBB14_53
; %bb.52:
	v_lshlrev_b32_e32 v3, 2, v2
	ds_read_b32 v73, v3
	v_and_b32_e32 v74, 3, v32
	v_cmp_ne_u32_e32 vcc, 0, v74
	s_waitcnt lgkmcnt(0)
	v_mov_b32_dpp v75, v73 row_shr:1 row_mask:0xf bank_mask:0xf
	v_cndmask_b32_e32 v75, 0, v75, vcc
	v_add_u32_e32 v73, v75, v73
	v_cmp_lt_u32_e32 vcc, 1, v74
	s_nop 0
	v_mov_b32_dpp v75, v73 row_shr:2 row_mask:0xf bank_mask:0xf
	v_cndmask_b32_e32 v74, 0, v75, vcc
	v_add_u32_e32 v73, v73, v74
	ds_write_b32 v3, v73
.LBB14_53:
	s_or_b64 exec, exec, s[26:27]
	v_cmp_lt_u32_e32 vcc, 63, v2
	v_mov_b32_e32 v3, 0
	s_waitcnt lgkmcnt(0)
	s_barrier
	s_and_saveexec_b64 s[26:27], vcc
	s_cbranch_execz .LBB14_55
; %bb.54:
	v_lshl_add_u32 v3, v72, 2, -4
	ds_read_b32 v3, v3
.LBB14_55:
	s_or_b64 exec, exec, s[26:27]
	v_add_u32_e32 v72, -1, v32
	v_and_b32_e32 v73, 64, v32
	v_cmp_lt_i32_e32 vcc, v72, v73
	v_cndmask_b32_e32 v72, v72, v32, vcc
	s_waitcnt lgkmcnt(0)
	v_add_u32_e32 v71, v3, v71
	v_lshlrev_b32_e32 v72, 2, v72
	ds_bpermute_b32 v71, v72, v71
	v_cmp_eq_u32_e32 vcc, 0, v32
	s_movk_i32 s26, 0x100
	s_waitcnt lgkmcnt(0)
	v_cndmask_b32_e32 v3, v71, v3, vcc
	v_cmp_ne_u32_e32 vcc, 0, v2
	v_cndmask_b32_e32 v3, 0, v3, vcc
	v_add_u32_e32 v30, v3, v30
	v_add_u32_e32 v31, v30, v31
	;; [unrolled: 1-line block ×4, first 2 shown]
	ds_write2_b32 v34, v3, v30 offset0:4 offset1:5
	ds_write2_b32 v69, v31, v4 offset0:2 offset1:3
	ds_write_b32 v69, v5 offset:16
	s_waitcnt lgkmcnt(0)
	s_barrier
	ds_read_b32 v5, v38 offset:16
	ds_read_b32 v38, v41 offset:16
	;; [unrolled: 1-line block ×13, first 2 shown]
	v_add_u32_e32 v31, 1, v2
	v_cmp_ne_u32_e32 vcc, s26, v31
	v_mov_b32_e32 v3, 0xc00
	s_and_saveexec_b64 s[26:27], vcc
	s_cbranch_execz .LBB14_57
; %bb.56:
	v_mul_u32_u24_e32 v3, 5, v31
	v_lshlrev_b32_e32 v3, 2, v3
	ds_read_b32 v3, v3 offset:16
.LBB14_57:
	s_or_b64 exec, exec, s[26:27]
	s_waitcnt lgkmcnt(1)
	v_add_u32_e32 v30, v30, v35
	v_add3_u32 v31, v39, v37, v5
	v_lshlrev_b32_e32 v5, 3, v30
	v_add3_u32 v34, v42, v40, v38
	s_waitcnt lgkmcnt(0)
	s_barrier
	ds_write_b64 v5, v[6:7] offset:2048
	v_lshlrev_b32_e32 v5, 3, v31
	v_add3_u32 v35, v46, v44, v41
	ds_write_b64 v5, v[8:9] offset:2048
	v_lshlrev_b32_e32 v5, 3, v34
	v_add3_u32 v36, v49, v47, v45
	;; [unrolled: 3-line block ×8, first 2 shown]
	ds_write_b64 v5, v[20:21] offset:2048
	v_lshlrev_b32_e32 v5, 3, v41
	v_lshl_add_u32 v6, s6, 8, v2
	v_mov_b32_e32 v7, 0
	v_add3_u32 v43, v70, v43, v66
	ds_write_b64 v5, v[16:17] offset:2048
	v_lshlrev_b32_e32 v5, 3, v42
	v_lshlrev_b64 v[8:9], 2, v[6:7]
	ds_write_b64 v5, v[12:13] offset:2048
	v_lshlrev_b32_e32 v5, 3, v43
	v_sub_u32_e32 v12, v3, v4
	v_mov_b32_e32 v3, s73
	v_add_co_u32_e32 v8, vcc, s72, v8
	ds_write_b64 v5, v[28:29] offset:2048
	v_addc_co_u32_e32 v9, vcc, v3, v9, vcc
	v_or_b32_e32 v5, 2.0, v12
	s_waitcnt lgkmcnt(0)
	s_barrier
	global_store_dword v[8:9], v5, off
	s_mov_b64 s[26:27], 0
	s_brev_b32 s34, 1
	s_mov_b32 s35, s7
	v_mov_b32_e32 v5, 0
                                        ; implicit-def: $sgpr28_sgpr29
	s_branch .LBB14_59
.LBB14_58:                              ;   in Loop: Header=BB14_59 Depth=1
	s_or_b64 exec, exec, s[28:29]
	v_and_b32_e32 v10, 0x3fffffff, v13
	v_add_u32_e32 v5, v10, v5
	v_cmp_eq_u32_e64 s[28:29], s34, v6
	s_and_b64 s[30:31], exec, s[28:29]
	s_or_b64 s[26:27], s[30:31], s[26:27]
	s_andn2_b64 exec, exec, s[26:27]
	s_cbranch_execz .LBB14_65
.LBB14_59:                              ; =>This Loop Header: Depth=1
                                        ;     Child Loop BB14_62 Depth 2
	s_or_b64 s[28:29], s[28:29], exec
	s_cmp_eq_u32 s35, 0
	s_cbranch_scc1 .LBB14_64
; %bb.60:                               ;   in Loop: Header=BB14_59 Depth=1
	s_add_i32 s35, s35, -1
	v_lshl_add_u32 v6, s35, 8, v2
	v_lshlrev_b64 v[10:11], 2, v[6:7]
	v_add_co_u32_e32 v10, vcc, s72, v10
	v_addc_co_u32_e32 v11, vcc, v3, v11, vcc
	global_load_dword v13, v[10:11], off glc
	s_waitcnt vmcnt(0)
	v_and_b32_e32 v6, -2.0, v13
	v_cmp_eq_u32_e32 vcc, 0, v6
	s_and_saveexec_b64 s[28:29], vcc
	s_cbranch_execz .LBB14_58
; %bb.61:                               ;   in Loop: Header=BB14_59 Depth=1
	s_mov_b64 s[30:31], 0
.LBB14_62:                              ;   Parent Loop BB14_59 Depth=1
                                        ; =>  This Inner Loop Header: Depth=2
	global_load_dword v13, v[10:11], off glc
	s_waitcnt vmcnt(0)
	v_and_b32_e32 v6, -2.0, v13
	v_cmp_ne_u32_e32 vcc, 0, v6
	s_or_b64 s[30:31], vcc, s[30:31]
	s_andn2_b64 exec, exec, s[30:31]
	s_cbranch_execnz .LBB14_62
; %bb.63:                               ;   in Loop: Header=BB14_59 Depth=1
	s_or_b64 exec, exec, s[30:31]
	s_branch .LBB14_58
.LBB14_64:                              ;   in Loop: Header=BB14_59 Depth=1
                                        ; implicit-def: $sgpr35
	s_and_b64 s[30:31], exec, s[28:29]
	s_or_b64 s[26:27], s[30:31], s[26:27]
	s_andn2_b64 exec, exec, s[26:27]
	s_cbranch_execnz .LBB14_59
.LBB14_65:
	s_or_b64 exec, exec, s[26:27]
	v_add_u32_e32 v3, v5, v12
	v_or_b32_e32 v3, 0x80000000, v3
	global_store_dword v[8:9], v3, off
	v_lshlrev_b32_e32 v8, 3, v2
	global_load_dwordx2 v[6:7], v8, s[64:65]
	v_sub_co_u32_e32 v9, vcc, v5, v4
	v_subb_co_u32_e64 v10, s[26:27], 0, 0, vcc
	v_mov_b32_e32 v3, 0
	v_mov_b32_e32 v5, v3
	s_waitcnt vmcnt(0)
	v_add_co_u32_e32 v6, vcc, v9, v6
	v_addc_co_u32_e32 v7, vcc, v10, v7, vcc
	v_cmp_gt_u32_e32 vcc, s70, v2
	ds_write_b64 v8, v[6:7]
	s_waitcnt lgkmcnt(0)
	s_barrier
	s_and_saveexec_b64 s[28:29], vcc
	s_cbranch_execz .LBB14_67
; %bb.66:
	ds_read_b64 v[6:7], v8 offset:2048
	s_waitcnt lgkmcnt(0)
	v_lshrrev_b64 v[10:11], s68, v[6:7]
	v_and_b32_e32 v9, s55, v10
	v_lshlrev_b32_e32 v9, 3, v9
	ds_read_b64 v[10:11], v9
	v_mov_b32_e32 v9, s59
	v_xor_b32_e32 v7, 0x7fffffff, v7
	v_not_b32_e32 v6, v6
	s_waitcnt lgkmcnt(0)
	v_lshlrev_b64 v[10:11], 3, v[10:11]
	v_add_co_u32_e64 v10, s[26:27], s58, v10
	v_addc_co_u32_e64 v9, s[26:27], v9, v11, s[26:27]
	v_add_co_u32_e64 v10, s[26:27], v10, v8
	v_addc_co_u32_e64 v11, s[26:27], 0, v9, s[26:27]
	global_store_dwordx2 v[10:11], v[6:7], off
.LBB14_67:
	s_or_b64 exec, exec, s[28:29]
	v_add_u32_e32 v6, 0x100, v2
	v_cmp_gt_u32_e64 s[26:27], s70, v6
	s_and_saveexec_b64 s[30:31], s[26:27]
	s_cbranch_execz .LBB14_69
; %bb.68:
	v_lshlrev_b32_e32 v9, 3, v2
	ds_read_b64 v[6:7], v9 offset:4096
	v_mov_b32_e32 v13, s59
	s_waitcnt lgkmcnt(0)
	v_lshrrev_b64 v[10:11], s68, v[6:7]
	v_and_b32_e32 v10, s55, v10
	v_lshlrev_b32_e32 v10, 3, v10
	ds_read_b64 v[10:11], v10
	v_xor_b32_e32 v7, 0x7fffffff, v7
	v_not_b32_e32 v6, v6
	s_waitcnt lgkmcnt(0)
	v_lshlrev_b64 v[10:11], 3, v[10:11]
	v_add_co_u32_e64 v10, s[28:29], s58, v10
	v_addc_co_u32_e64 v11, s[28:29], v13, v11, s[28:29]
	v_add_co_u32_e64 v10, s[28:29], v10, v9
	v_addc_co_u32_e64 v11, s[28:29], 0, v11, s[28:29]
	global_store_dwordx2 v[10:11], v[6:7], off offset:2048
.LBB14_69:
	s_or_b64 exec, exec, s[30:31]
	v_add_u32_e32 v6, 0x200, v2
	v_cmp_gt_u32_e64 s[28:29], s70, v6
	s_and_saveexec_b64 s[34:35], s[28:29]
	s_cbranch_execz .LBB14_71
; %bb.70:
	v_lshlrev_b32_e32 v7, 3, v2
	ds_read_b64 v[10:11], v7 offset:6144
	v_lshlrev_b32_e32 v13, 3, v6
	v_mov_b32_e32 v9, s59
	s_waitcnt lgkmcnt(0)
	v_lshrrev_b64 v[14:15], s68, v[10:11]
	v_and_b32_e32 v7, s55, v14
	v_lshlrev_b32_e32 v7, 3, v7
	ds_read_b64 v[14:15], v7
	v_xor_b32_e32 v7, 0x7fffffff, v11
	v_not_b32_e32 v6, v10
	s_waitcnt lgkmcnt(0)
	v_lshlrev_b64 v[10:11], 3, v[14:15]
	v_add_co_u32_e64 v10, s[30:31], s58, v10
	v_addc_co_u32_e64 v9, s[30:31], v9, v11, s[30:31]
	v_add_co_u32_e64 v10, s[30:31], v10, v13
	v_addc_co_u32_e64 v11, s[30:31], 0, v9, s[30:31]
	global_store_dwordx2 v[10:11], v[6:7], off
.LBB14_71:
	s_or_b64 exec, exec, s[34:35]
	v_add_u32_e32 v6, 0x300, v2
	v_cmp_gt_u32_e64 s[30:31], s70, v6
	s_and_saveexec_b64 s[36:37], s[30:31]
	s_cbranch_execz .LBB14_73
; %bb.72:
	v_lshlrev_b32_e32 v7, 3, v2
	ds_read_b64 v[10:11], v7 offset:8192
	v_lshlrev_b32_e32 v13, 3, v6
	v_mov_b32_e32 v9, s59
	s_waitcnt lgkmcnt(0)
	v_lshrrev_b64 v[14:15], s68, v[10:11]
	v_and_b32_e32 v7, s55, v14
	v_lshlrev_b32_e32 v7, 3, v7
	ds_read_b64 v[14:15], v7
	v_xor_b32_e32 v7, 0x7fffffff, v11
	v_not_b32_e32 v6, v10
	s_waitcnt lgkmcnt(0)
	v_lshlrev_b64 v[10:11], 3, v[14:15]
	v_add_co_u32_e64 v10, s[34:35], s58, v10
	v_addc_co_u32_e64 v9, s[34:35], v9, v11, s[34:35]
	v_add_co_u32_e64 v10, s[34:35], v10, v13
	v_addc_co_u32_e64 v11, s[34:35], 0, v9, s[34:35]
	global_store_dwordx2 v[10:11], v[6:7], off
.LBB14_73:
	s_or_b64 exec, exec, s[36:37]
	v_or_b32_e32 v6, 0x400, v2
	v_cmp_gt_u32_e64 s[34:35], s70, v6
	s_and_saveexec_b64 s[38:39], s[34:35]
	s_cbranch_execz .LBB14_75
; %bb.74:
	v_lshlrev_b32_e32 v7, 3, v2
	ds_read_b64 v[10:11], v7 offset:10240
	v_lshlrev_b32_e32 v13, 3, v6
	v_mov_b32_e32 v9, s59
	s_waitcnt lgkmcnt(0)
	v_lshrrev_b64 v[14:15], s68, v[10:11]
	v_and_b32_e32 v7, s55, v14
	v_lshlrev_b32_e32 v7, 3, v7
	ds_read_b64 v[14:15], v7
	v_xor_b32_e32 v7, 0x7fffffff, v11
	v_not_b32_e32 v6, v10
	s_waitcnt lgkmcnt(0)
	v_lshlrev_b64 v[10:11], 3, v[14:15]
	v_add_co_u32_e64 v10, s[36:37], s58, v10
	v_addc_co_u32_e64 v9, s[36:37], v9, v11, s[36:37]
	v_add_co_u32_e64 v10, s[36:37], v10, v13
	v_addc_co_u32_e64 v11, s[36:37], 0, v9, s[36:37]
	global_store_dwordx2 v[10:11], v[6:7], off
.LBB14_75:
	s_or_b64 exec, exec, s[38:39]
	v_add_u32_e32 v6, 0x500, v2
	v_cmp_gt_u32_e64 s[36:37], s70, v6
	s_and_saveexec_b64 s[40:41], s[36:37]
	s_cbranch_execz .LBB14_77
; %bb.76:
	v_lshlrev_b32_e32 v7, 3, v2
	ds_read_b64 v[10:11], v7 offset:12288
	v_lshlrev_b32_e32 v13, 3, v6
	v_mov_b32_e32 v9, s59
	s_waitcnt lgkmcnt(0)
	v_lshrrev_b64 v[14:15], s68, v[10:11]
	v_and_b32_e32 v7, s55, v14
	v_lshlrev_b32_e32 v7, 3, v7
	ds_read_b64 v[14:15], v7
	v_xor_b32_e32 v7, 0x7fffffff, v11
	v_not_b32_e32 v6, v10
	s_waitcnt lgkmcnt(0)
	v_lshlrev_b64 v[10:11], 3, v[14:15]
	v_add_co_u32_e64 v10, s[38:39], s58, v10
	v_addc_co_u32_e64 v9, s[38:39], v9, v11, s[38:39]
	v_add_co_u32_e64 v10, s[38:39], v10, v13
	v_addc_co_u32_e64 v11, s[38:39], 0, v9, s[38:39]
	global_store_dwordx2 v[10:11], v[6:7], off
.LBB14_77:
	s_or_b64 exec, exec, s[40:41]
	v_add_u32_e32 v6, 0x600, v2
	;; [unrolled: 25-line block ×3, first 2 shown]
	v_cmp_gt_u32_e64 s[40:41], s70, v6
	s_and_saveexec_b64 s[44:45], s[40:41]
	s_cbranch_execz .LBB14_81
; %bb.80:
	v_lshlrev_b32_e32 v7, 3, v2
	ds_read_b64 v[10:11], v7 offset:16384
	v_lshlrev_b32_e32 v13, 3, v6
	v_mov_b32_e32 v9, s59
	s_waitcnt lgkmcnt(0)
	v_lshrrev_b64 v[14:15], s68, v[10:11]
	v_and_b32_e32 v7, s55, v14
	v_lshlrev_b32_e32 v7, 3, v7
	ds_read_b64 v[14:15], v7
	v_xor_b32_e32 v7, 0x7fffffff, v11
	v_not_b32_e32 v6, v10
	s_waitcnt lgkmcnt(0)
	v_lshlrev_b64 v[10:11], 3, v[14:15]
	v_add_co_u32_e64 v10, s[42:43], s58, v10
	v_addc_co_u32_e64 v9, s[42:43], v9, v11, s[42:43]
	v_add_co_u32_e64 v10, s[42:43], v10, v13
	v_addc_co_u32_e64 v11, s[42:43], 0, v9, s[42:43]
	global_store_dwordx2 v[10:11], v[6:7], off
.LBB14_81:
	s_or_b64 exec, exec, s[44:45]
	v_or_b32_e32 v6, 0x800, v2
	v_cmp_gt_u32_e64 s[42:43], s70, v6
	s_and_saveexec_b64 s[46:47], s[42:43]
	s_cbranch_execz .LBB14_83
; %bb.82:
	v_lshlrev_b32_e32 v7, 3, v2
	ds_read_b64 v[10:11], v7 offset:18432
	v_lshlrev_b32_e32 v13, 3, v6
	v_mov_b32_e32 v9, s59
	s_waitcnt lgkmcnt(0)
	v_lshrrev_b64 v[14:15], s68, v[10:11]
	v_and_b32_e32 v7, s55, v14
	v_lshlrev_b32_e32 v7, 3, v7
	ds_read_b64 v[14:15], v7
	v_xor_b32_e32 v7, 0x7fffffff, v11
	v_not_b32_e32 v6, v10
	s_waitcnt lgkmcnt(0)
	v_lshlrev_b64 v[10:11], 3, v[14:15]
	v_add_co_u32_e64 v10, s[44:45], s58, v10
	v_addc_co_u32_e64 v9, s[44:45], v9, v11, s[44:45]
	v_add_co_u32_e64 v10, s[44:45], v10, v13
	v_addc_co_u32_e64 v11, s[44:45], 0, v9, s[44:45]
	global_store_dwordx2 v[10:11], v[6:7], off
.LBB14_83:
	s_or_b64 exec, exec, s[46:47]
	v_add_u32_e32 v6, 0x900, v2
	v_cmp_gt_u32_e64 s[44:45], s70, v6
	s_and_saveexec_b64 s[48:49], s[44:45]
	s_cbranch_execz .LBB14_85
; %bb.84:
	v_lshlrev_b32_e32 v7, 3, v2
	ds_read_b64 v[10:11], v7 offset:20480
	v_lshlrev_b32_e32 v13, 3, v6
	v_mov_b32_e32 v9, s59
	s_waitcnt lgkmcnt(0)
	v_lshrrev_b64 v[14:15], s68, v[10:11]
	v_and_b32_e32 v7, s55, v14
	v_lshlrev_b32_e32 v7, 3, v7
	ds_read_b64 v[14:15], v7
	v_xor_b32_e32 v7, 0x7fffffff, v11
	v_not_b32_e32 v6, v10
	s_waitcnt lgkmcnt(0)
	v_lshlrev_b64 v[10:11], 3, v[14:15]
	v_add_co_u32_e64 v10, s[46:47], s58, v10
	v_addc_co_u32_e64 v9, s[46:47], v9, v11, s[46:47]
	v_add_co_u32_e64 v10, s[46:47], v10, v13
	v_addc_co_u32_e64 v11, s[46:47], 0, v9, s[46:47]
	global_store_dwordx2 v[10:11], v[6:7], off
.LBB14_85:
	s_or_b64 exec, exec, s[48:49]
	v_add_u32_e32 v6, 0xa00, v2
	;; [unrolled: 25-line block ×3, first 2 shown]
	v_cmp_gt_u32_e64 s[48:49], s70, v6
	s_and_saveexec_b64 s[70:71], s[48:49]
	s_cbranch_execz .LBB14_89
; %bb.88:
	v_lshlrev_b32_e32 v7, 3, v2
	ds_read_b64 v[10:11], v7 offset:24576
	v_lshlrev_b32_e32 v13, 3, v6
	v_mov_b32_e32 v9, s59
	s_waitcnt lgkmcnt(0)
	v_lshrrev_b64 v[14:15], s68, v[10:11]
	v_and_b32_e32 v7, s55, v14
	v_lshlrev_b32_e32 v7, 3, v7
	ds_read_b64 v[14:15], v7
	v_xor_b32_e32 v7, 0x7fffffff, v11
	v_not_b32_e32 v6, v10
	s_waitcnt lgkmcnt(0)
	v_lshlrev_b64 v[10:11], 3, v[14:15]
	v_add_co_u32_e64 v10, s[52:53], s58, v10
	v_addc_co_u32_e64 v9, s[52:53], v9, v11, s[52:53]
	v_add_co_u32_e64 v10, s[52:53], v10, v13
	v_addc_co_u32_e64 v11, s[52:53], 0, v9, s[52:53]
	global_store_dwordx2 v[10:11], v[6:7], off
.LBB14_89:
	s_or_b64 exec, exec, s[70:71]
	s_add_u32 s52, s60, s54
	s_addc_u32 s53, s61, 0
	v_mov_b32_e32 v6, s53
	v_add_co_u32_e64 v7, s[52:53], s52, v32
	v_addc_co_u32_e64 v9, s[52:53], 0, v6, s[52:53]
	v_add_co_u32_e64 v6, s[52:53], v7, v33
	v_addc_co_u32_e64 v7, s[52:53], 0, v9, s[52:53]
                                        ; implicit-def: $vgpr9
	s_and_saveexec_b64 s[52:53], s[0:1]
	s_xor_b64 s[0:1], exec, s[52:53]
	s_cbranch_execnz .LBB14_174
; %bb.90:
	s_or_b64 exec, exec, s[0:1]
                                        ; implicit-def: $vgpr10
	s_and_saveexec_b64 s[0:1], s[2:3]
	s_cbranch_execnz .LBB14_175
.LBB14_91:
	s_or_b64 exec, exec, s[0:1]
                                        ; implicit-def: $vgpr11
	s_and_saveexec_b64 s[0:1], s[50:51]
	s_cbranch_execnz .LBB14_176
.LBB14_92:
	s_or_b64 exec, exec, s[0:1]
                                        ; implicit-def: $vgpr13
	s_and_saveexec_b64 s[0:1], s[8:9]
	s_cbranch_execnz .LBB14_177
.LBB14_93:
	s_or_b64 exec, exec, s[0:1]
                                        ; implicit-def: $vgpr14
	s_and_saveexec_b64 s[0:1], s[10:11]
	s_cbranch_execnz .LBB14_178
.LBB14_94:
	s_or_b64 exec, exec, s[0:1]
                                        ; implicit-def: $vgpr15
	s_and_saveexec_b64 s[0:1], s[12:13]
	s_cbranch_execnz .LBB14_179
.LBB14_95:
	s_or_b64 exec, exec, s[0:1]
                                        ; implicit-def: $vgpr16
	s_and_saveexec_b64 s[0:1], s[14:15]
	s_cbranch_execnz .LBB14_180
.LBB14_96:
	s_or_b64 exec, exec, s[0:1]
                                        ; implicit-def: $vgpr19
	s_and_saveexec_b64 s[0:1], s[16:17]
	s_cbranch_execnz .LBB14_181
.LBB14_97:
	s_or_b64 exec, exec, s[0:1]
                                        ; implicit-def: $vgpr21
	s_and_saveexec_b64 s[0:1], s[18:19]
	s_cbranch_execnz .LBB14_182
.LBB14_98:
	s_or_b64 exec, exec, s[0:1]
                                        ; implicit-def: $vgpr24
	s_and_saveexec_b64 s[0:1], s[20:21]
	s_cbranch_execnz .LBB14_183
.LBB14_99:
	s_or_b64 exec, exec, s[0:1]
                                        ; implicit-def: $vgpr27
	s_and_saveexec_b64 s[0:1], s[22:23]
	s_cbranch_execnz .LBB14_184
.LBB14_100:
	s_or_b64 exec, exec, s[0:1]
                                        ; implicit-def: $vgpr32
	s_and_saveexec_b64 s[0:1], s[24:25]
	s_cbranch_execnz .LBB14_185
.LBB14_101:
	s_or_b64 exec, exec, s[0:1]
                                        ; implicit-def: $vgpr33
	s_and_saveexec_b64 s[0:1], vcc
	s_cbranch_execnz .LBB14_186
.LBB14_102:
	s_or_b64 exec, exec, s[0:1]
                                        ; implicit-def: $vgpr29
	s_and_saveexec_b64 s[0:1], s[26:27]
	s_cbranch_execnz .LBB14_187
.LBB14_103:
	s_or_b64 exec, exec, s[0:1]
                                        ; implicit-def: $vgpr28
	s_and_saveexec_b64 s[0:1], s[28:29]
	s_cbranch_execnz .LBB14_188
.LBB14_104:
	s_or_b64 exec, exec, s[0:1]
                                        ; implicit-def: $vgpr26
	s_and_saveexec_b64 s[0:1], s[30:31]
	s_cbranch_execnz .LBB14_189
.LBB14_105:
	s_or_b64 exec, exec, s[0:1]
                                        ; implicit-def: $vgpr25
	s_and_saveexec_b64 s[0:1], s[34:35]
	s_cbranch_execnz .LBB14_190
.LBB14_106:
	s_or_b64 exec, exec, s[0:1]
                                        ; implicit-def: $vgpr23
	s_and_saveexec_b64 s[0:1], s[36:37]
	s_cbranch_execnz .LBB14_191
.LBB14_107:
	s_or_b64 exec, exec, s[0:1]
                                        ; implicit-def: $vgpr22
	s_and_saveexec_b64 s[0:1], s[38:39]
	s_cbranch_execnz .LBB14_192
.LBB14_108:
	s_or_b64 exec, exec, s[0:1]
                                        ; implicit-def: $vgpr20
	s_and_saveexec_b64 s[0:1], s[40:41]
	s_cbranch_execnz .LBB14_193
.LBB14_109:
	s_or_b64 exec, exec, s[0:1]
                                        ; implicit-def: $vgpr18
	s_and_saveexec_b64 s[0:1], s[42:43]
	s_cbranch_execz .LBB14_111
.LBB14_110:
	v_lshlrev_b32_e32 v6, 3, v2
	ds_read_b64 v[6:7], v6 offset:18432
	s_waitcnt lgkmcnt(0)
	v_lshrrev_b64 v[6:7], s68, v[6:7]
	v_and_b32_e32 v18, s55, v6
.LBB14_111:
	s_or_b64 exec, exec, s[0:1]
	v_mov_b32_e32 v6, 0
	v_mov_b32_e32 v17, 0
	s_and_saveexec_b64 s[0:1], s[44:45]
	s_cbranch_execnz .LBB14_194
; %bb.112:
	s_or_b64 exec, exec, s[0:1]
	s_and_saveexec_b64 s[0:1], s[46:47]
	s_cbranch_execnz .LBB14_195
.LBB14_113:
	s_or_b64 exec, exec, s[0:1]
	v_mov_b32_e32 v7, 0
	s_and_saveexec_b64 s[0:1], s[48:49]
	s_cbranch_execz .LBB14_115
.LBB14_114:
	v_lshlrev_b32_e32 v7, 3, v2
	ds_read_b64 v[44:45], v7 offset:24576
	s_waitcnt lgkmcnt(0)
	v_lshrrev_b64 v[44:45], s68, v[44:45]
	v_and_b32_e32 v7, s55, v44
.LBB14_115:
	s_or_b64 exec, exec, s[0:1]
	s_barrier
	s_waitcnt vmcnt(0)
	ds_write_b8 v30, v9 offset:2048
	ds_write_b8 v31, v10 offset:2048
	;; [unrolled: 1-line block ×12, first 2 shown]
	s_waitcnt lgkmcnt(0)
	s_barrier
	s_and_saveexec_b64 s[0:1], vcc
	s_cbranch_execnz .LBB14_196
; %bb.116:
	s_or_b64 exec, exec, s[0:1]
	s_and_saveexec_b64 s[0:1], s[26:27]
	s_cbranch_execnz .LBB14_197
.LBB14_117:
	s_or_b64 exec, exec, s[0:1]
	s_and_saveexec_b64 s[0:1], s[28:29]
	s_cbranch_execnz .LBB14_198
.LBB14_118:
	s_or_b64 exec, exec, s[0:1]
	s_and_saveexec_b64 s[0:1], s[30:31]
	s_cbranch_execnz .LBB14_199
.LBB14_119:
	s_or_b64 exec, exec, s[0:1]
	s_and_saveexec_b64 s[0:1], s[34:35]
	s_cbranch_execnz .LBB14_200
.LBB14_120:
	s_or_b64 exec, exec, s[0:1]
	s_and_saveexec_b64 s[0:1], s[36:37]
	s_cbranch_execnz .LBB14_201
.LBB14_121:
	s_or_b64 exec, exec, s[0:1]
	s_and_saveexec_b64 s[0:1], s[38:39]
	s_cbranch_execnz .LBB14_202
.LBB14_122:
	s_or_b64 exec, exec, s[0:1]
	s_and_saveexec_b64 s[0:1], s[40:41]
	s_cbranch_execnz .LBB14_203
.LBB14_123:
	s_or_b64 exec, exec, s[0:1]
	s_and_saveexec_b64 s[0:1], s[42:43]
	s_cbranch_execnz .LBB14_204
.LBB14_124:
	s_or_b64 exec, exec, s[0:1]
	s_and_saveexec_b64 s[0:1], s[44:45]
	s_cbranch_execnz .LBB14_205
.LBB14_125:
	s_or_b64 exec, exec, s[0:1]
	s_and_saveexec_b64 s[0:1], s[46:47]
	s_cbranch_execnz .LBB14_206
.LBB14_126:
	s_or_b64 exec, exec, s[0:1]
	s_and_saveexec_b64 s[0:1], s[48:49]
	s_cbranch_execz .LBB14_128
.LBB14_127:
	v_lshlrev_b32_e32 v6, 3, v7
	ds_read_b64 v[6:7], v6
	ds_read_u8 v9, v2 offset:4864
	v_mov_b32_e32 v10, s63
	s_waitcnt lgkmcnt(1)
	v_add_co_u32_e32 v6, vcc, s62, v6
	v_addc_co_u32_e32 v7, vcc, v10, v7, vcc
	v_add_co_u32_e32 v6, vcc, v6, v2
	v_addc_co_u32_e32 v7, vcc, 0, v7, vcc
	s_waitcnt lgkmcnt(0)
	global_store_byte v[6:7], v9, off offset:2816
.LBB14_128:
	s_or_b64 exec, exec, s[0:1]
	s_add_i32 s33, s33, -1
	s_cmp_eq_u32 s6, s33
	s_cselect_b64 s[0:1], -1, 0
	s_branch .LBB14_171
.LBB14_129:
	s_mov_b64 s[0:1], 0
                                        ; implicit-def: $vgpr8
                                        ; implicit-def: $vgpr2_vgpr3
                                        ; implicit-def: $vgpr4_vgpr5
                                        ; implicit-def: $vgpr12
	s_cbranch_execz .LBB14_171
; %bb.130:
	s_mov_b32 s55, 0
	s_lshl_b64 s[0:1], s[54:55], 3
	v_mbcnt_hi_u32_b32 v3, -1, v1
	s_add_u32 s0, s56, s0
	v_lshlrev_b32_e32 v1, 3, v3
	v_add_co_u32_e32 v1, vcc, s0, v1
	s_load_dword s8, s[4:5], 0x50
	s_load_dword s0, s[4:5], 0x5c
	v_and_b32_e32 v2, 0x3ff, v0
	s_addc_u32 s1, s57, s1
	v_and_b32_e32 v32, 0xc0, v2
	v_mul_u32_u24_e32 v30, 12, v32
	v_mov_b32_e32 v4, s1
	v_addc_co_u32_e32 v5, vcc, 0, v4, vcc
	v_lshlrev_b32_e32 v4, 3, v30
	s_add_u32 s1, s4, 0x50
	v_add_co_u32_e32 v4, vcc, v1, v4
	s_addc_u32 s2, s5, 0
	s_waitcnt lgkmcnt(0)
	s_lshr_b32 s3, s0, 16
	v_addc_co_u32_e32 v5, vcc, 0, v5, vcc
	s_cmp_lt_u32 s6, s8
	global_load_dwordx2 v[28:29], v[4:5], off
	s_cselect_b32 s0, 12, 18
	s_add_u32 s0, s1, s0
	v_mov_b32_e32 v8, 0
	s_addc_u32 s1, s2, 0
	global_load_ushort v9, v8, s[0:1]
	v_mul_u32_u24_e32 v6, 5, v2
	v_lshlrev_b32_e32 v31, 2, v6
	ds_write2_b32 v31, v8, v8 offset0:4 offset1:5
	ds_write2_b32 v31, v8, v8 offset0:6 offset1:7
	ds_write_b32 v31, v8 offset:32
	s_movk_i32 s0, 0x1000
	v_bfe_u32 v1, v0, 10, 10
	v_bfe_u32 v0, v0, 20, 10
	global_load_dwordx2 v[6:7], v[4:5], off offset:512
	global_load_dwordx2 v[26:27], v[4:5], off offset:1024
	;; [unrolled: 1-line block ×7, first 2 shown]
	v_mad_u32_u24 v33, v0, s3, v1
	v_add_co_u32_e32 v0, vcc, s0, v4
	v_addc_co_u32_e32 v1, vcc, 0, v5, vcc
	global_load_dwordx2 v[20:21], v[0:1], off
	global_load_dwordx2 v[16:17], v[0:1], off offset:512
	global_load_dwordx2 v[12:13], v[0:1], off offset:1024
	;; [unrolled: 1-line block ×3, first 2 shown]
	s_lshl_b32 s0, -1, s69
	s_not_b32 s9, s0
	s_waitcnt lgkmcnt(0)
	s_barrier
	s_waitcnt lgkmcnt(0)
	; wave barrier
	s_waitcnt vmcnt(12)
	v_xor_b32_e32 v1, 0x7fffffff, v29
	v_not_b32_e32 v0, v28
	v_lshrrev_b64 v[28:29], s68, v[0:1]
	v_and_b32_e32 v34, s9, v28
	s_waitcnt vmcnt(11)
	v_mad_u64_u32 v[28:29], s[0:1], v33, v9, v[2:3]
	v_and_b32_e32 v33, 1, v34
	v_lshrrev_b32_e32 v39, 6, v28
	v_add_co_u32_e32 v28, vcc, -1, v33
	v_lshlrev_b32_e32 v9, 30, v34
	v_addc_co_u32_e64 v35, s[0:1], 0, -1, vcc
	v_lshl_add_u32 v29, v34, 2, v34
	v_cmp_ne_u32_e32 vcc, 0, v33
	v_cmp_gt_i64_e64 s[0:1], 0, v[8:9]
	v_not_b32_e32 v36, v9
	v_lshlrev_b32_e32 v9, 29, v34
	v_add_lshl_u32 v33, v39, v29, 2
	v_xor_b32_e32 v29, vcc_hi, v35
	v_xor_b32_e32 v28, vcc_lo, v28
	v_ashrrev_i32_e32 v35, 31, v36
	v_not_b32_e32 v36, v9
	v_cmp_gt_i64_e32 vcc, 0, v[8:9]
	v_lshlrev_b32_e32 v9, 28, v34
	v_and_b32_e32 v28, exec_lo, v28
	v_xor_b32_e32 v37, s1, v35
	v_xor_b32_e32 v35, s0, v35
	v_ashrrev_i32_e32 v36, 31, v36
	v_and_b32_e32 v29, exec_hi, v29
	v_and_b32_e32 v28, v28, v35
	v_xor_b32_e32 v35, vcc_hi, v36
	v_xor_b32_e32 v36, vcc_lo, v36
	v_cmp_gt_i64_e32 vcc, 0, v[8:9]
	v_not_b32_e32 v9, v9
	v_and_b32_e32 v29, v29, v37
	v_ashrrev_i32_e32 v9, 31, v9
	v_and_b32_e32 v29, v29, v35
	v_and_b32_e32 v28, v28, v36
	v_xor_b32_e32 v35, vcc_hi, v9
	v_xor_b32_e32 v9, vcc_lo, v9
	v_and_b32_e32 v28, v28, v9
	v_lshlrev_b32_e32 v9, 27, v34
	v_cmp_gt_i64_e32 vcc, 0, v[8:9]
	v_not_b32_e32 v9, v9
	v_ashrrev_i32_e32 v9, 31, v9
	v_and_b32_e32 v29, v29, v35
	v_xor_b32_e32 v35, vcc_hi, v9
	v_xor_b32_e32 v9, vcc_lo, v9
	v_and_b32_e32 v28, v28, v9
	v_lshlrev_b32_e32 v9, 26, v34
	v_cmp_gt_i64_e32 vcc, 0, v[8:9]
	v_not_b32_e32 v9, v9
	v_ashrrev_i32_e32 v9, 31, v9
	;; [unrolled: 8-line block ×4, first 2 shown]
	v_xor_b32_e32 v34, vcc_hi, v9
	v_xor_b32_e32 v9, vcc_lo, v9
	v_and_b32_e32 v29, v29, v35
	v_and_b32_e32 v28, v28, v9
	;; [unrolled: 1-line block ×3, first 2 shown]
	v_mbcnt_lo_u32_b32 v9, v28, 0
	v_mbcnt_hi_u32_b32 v34, v29, v9
	v_cmp_eq_u32_e32 vcc, 0, v34
	v_cmp_ne_u64_e64 s[0:1], 0, v[28:29]
	s_and_b64 s[2:3], s[0:1], vcc
	s_and_saveexec_b64 s[0:1], s[2:3]
	s_cbranch_execz .LBB14_132
; %bb.131:
	v_bcnt_u32_b32 v9, v28, 0
	v_bcnt_u32_b32 v9, v29, v9
	ds_write_b32 v33, v9 offset:16
.LBB14_132:
	s_or_b64 exec, exec, s[0:1]
	s_waitcnt vmcnt(10)
	v_xor_b32_e32 v7, 0x7fffffff, v7
	v_not_b32_e32 v6, v6
	v_lshrrev_b64 v[28:29], s68, v[6:7]
	v_and_b32_e32 v28, s9, v28
	v_lshl_add_u32 v9, v28, 2, v28
	v_add_lshl_u32 v36, v39, v9, 2
	v_and_b32_e32 v9, 1, v28
	v_add_co_u32_e32 v29, vcc, -1, v9
	v_addc_co_u32_e64 v37, s[0:1], 0, -1, vcc
	v_cmp_ne_u32_e32 vcc, 0, v9
	v_xor_b32_e32 v9, vcc_hi, v37
	v_and_b32_e32 v37, exec_hi, v9
	v_lshlrev_b32_e32 v9, 30, v28
	v_xor_b32_e32 v29, vcc_lo, v29
	v_cmp_gt_i64_e32 vcc, 0, v[8:9]
	v_not_b32_e32 v9, v9
	v_ashrrev_i32_e32 v9, 31, v9
	v_and_b32_e32 v29, exec_lo, v29
	v_xor_b32_e32 v38, vcc_hi, v9
	v_xor_b32_e32 v9, vcc_lo, v9
	v_and_b32_e32 v29, v29, v9
	v_lshlrev_b32_e32 v9, 29, v28
	v_cmp_gt_i64_e32 vcc, 0, v[8:9]
	v_not_b32_e32 v9, v9
	v_ashrrev_i32_e32 v9, 31, v9
	v_and_b32_e32 v37, v37, v38
	v_xor_b32_e32 v38, vcc_hi, v9
	v_xor_b32_e32 v9, vcc_lo, v9
	v_and_b32_e32 v29, v29, v9
	v_lshlrev_b32_e32 v9, 28, v28
	v_cmp_gt_i64_e32 vcc, 0, v[8:9]
	v_not_b32_e32 v9, v9
	v_ashrrev_i32_e32 v9, 31, v9
	v_and_b32_e32 v37, v37, v38
	;; [unrolled: 8-line block ×5, first 2 shown]
	v_xor_b32_e32 v38, vcc_hi, v9
	v_xor_b32_e32 v9, vcc_lo, v9
	v_and_b32_e32 v29, v29, v9
	v_lshlrev_b32_e32 v9, 24, v28
	v_cmp_gt_i64_e32 vcc, 0, v[8:9]
	v_not_b32_e32 v8, v9
	v_ashrrev_i32_e32 v8, 31, v8
	v_xor_b32_e32 v9, vcc_hi, v8
	v_xor_b32_e32 v8, vcc_lo, v8
	; wave barrier
	ds_read_b32 v35, v36 offset:16
	v_and_b32_e32 v37, v37, v38
	v_and_b32_e32 v8, v29, v8
	;; [unrolled: 1-line block ×3, first 2 shown]
	v_mbcnt_lo_u32_b32 v28, v8, 0
	v_mbcnt_hi_u32_b32 v37, v9, v28
	v_cmp_eq_u32_e32 vcc, 0, v37
	v_cmp_ne_u64_e64 s[0:1], 0, v[8:9]
	s_and_b64 s[2:3], s[0:1], vcc
	; wave barrier
	s_and_saveexec_b64 s[0:1], s[2:3]
	s_cbranch_execz .LBB14_134
; %bb.133:
	v_bcnt_u32_b32 v8, v8, 0
	v_bcnt_u32_b32 v8, v9, v8
	s_waitcnt lgkmcnt(0)
	v_add_u32_e32 v8, v35, v8
	ds_write_b32 v36, v8 offset:16
.LBB14_134:
	s_or_b64 exec, exec, s[0:1]
	s_waitcnt vmcnt(9)
	v_xor_b32_e32 v9, 0x7fffffff, v27
	v_not_b32_e32 v8, v26
	v_lshrrev_b64 v[26:27], s68, v[8:9]
	v_and_b32_e32 v28, s9, v26
	v_and_b32_e32 v27, 1, v28
	v_add_co_u32_e32 v29, vcc, -1, v27
	v_addc_co_u32_e64 v41, s[0:1], 0, -1, vcc
	v_cmp_ne_u32_e32 vcc, 0, v27
	v_lshl_add_u32 v26, v28, 2, v28
	v_xor_b32_e32 v27, vcc_hi, v41
	v_add_lshl_u32 v40, v39, v26, 2
	v_mov_b32_e32 v26, 0
	v_and_b32_e32 v41, exec_hi, v27
	v_lshlrev_b32_e32 v27, 30, v28
	v_xor_b32_e32 v29, vcc_lo, v29
	v_cmp_gt_i64_e32 vcc, 0, v[26:27]
	v_not_b32_e32 v27, v27
	v_ashrrev_i32_e32 v27, 31, v27
	v_and_b32_e32 v29, exec_lo, v29
	v_xor_b32_e32 v42, vcc_hi, v27
	v_xor_b32_e32 v27, vcc_lo, v27
	v_and_b32_e32 v29, v29, v27
	v_lshlrev_b32_e32 v27, 29, v28
	v_cmp_gt_i64_e32 vcc, 0, v[26:27]
	v_not_b32_e32 v27, v27
	v_ashrrev_i32_e32 v27, 31, v27
	v_and_b32_e32 v41, v41, v42
	v_xor_b32_e32 v42, vcc_hi, v27
	v_xor_b32_e32 v27, vcc_lo, v27
	v_and_b32_e32 v29, v29, v27
	v_lshlrev_b32_e32 v27, 28, v28
	v_cmp_gt_i64_e32 vcc, 0, v[26:27]
	v_not_b32_e32 v27, v27
	v_ashrrev_i32_e32 v27, 31, v27
	v_and_b32_e32 v41, v41, v42
	;; [unrolled: 8-line block ×5, first 2 shown]
	v_xor_b32_e32 v42, vcc_hi, v27
	v_xor_b32_e32 v27, vcc_lo, v27
	v_and_b32_e32 v41, v41, v42
	v_and_b32_e32 v42, v29, v27
	v_lshlrev_b32_e32 v27, 24, v28
	v_cmp_gt_i64_e32 vcc, 0, v[26:27]
	v_not_b32_e32 v27, v27
	v_ashrrev_i32_e32 v27, 31, v27
	v_xor_b32_e32 v28, vcc_hi, v27
	v_xor_b32_e32 v27, vcc_lo, v27
	; wave barrier
	ds_read_b32 v38, v40 offset:16
	v_and_b32_e32 v29, v41, v28
	v_and_b32_e32 v28, v42, v27
	v_mbcnt_lo_u32_b32 v27, v28, 0
	v_mbcnt_hi_u32_b32 v41, v29, v27
	v_cmp_eq_u32_e32 vcc, 0, v41
	v_cmp_ne_u64_e64 s[0:1], 0, v[28:29]
	s_and_b64 s[2:3], s[0:1], vcc
	; wave barrier
	s_and_saveexec_b64 s[0:1], s[2:3]
	s_cbranch_execz .LBB14_136
; %bb.135:
	v_bcnt_u32_b32 v27, v28, 0
	v_bcnt_u32_b32 v27, v29, v27
	s_waitcnt lgkmcnt(0)
	v_add_u32_e32 v27, v38, v27
	ds_write_b32 v40, v27 offset:16
.LBB14_136:
	s_or_b64 exec, exec, s[0:1]
	s_waitcnt vmcnt(8)
	v_xor_b32_e32 v11, 0x7fffffff, v11
	v_not_b32_e32 v10, v10
	v_lshrrev_b64 v[28:29], s68, v[10:11]
	v_and_b32_e32 v28, s9, v28
	v_lshl_add_u32 v27, v28, 2, v28
	v_add_lshl_u32 v43, v39, v27, 2
	v_and_b32_e32 v27, 1, v28
	v_add_co_u32_e32 v29, vcc, -1, v27
	v_addc_co_u32_e64 v44, s[0:1], 0, -1, vcc
	v_cmp_ne_u32_e32 vcc, 0, v27
	v_xor_b32_e32 v27, vcc_hi, v44
	v_and_b32_e32 v44, exec_hi, v27
	v_lshlrev_b32_e32 v27, 30, v28
	v_xor_b32_e32 v29, vcc_lo, v29
	v_cmp_gt_i64_e32 vcc, 0, v[26:27]
	v_not_b32_e32 v27, v27
	v_ashrrev_i32_e32 v27, 31, v27
	v_and_b32_e32 v29, exec_lo, v29
	v_xor_b32_e32 v45, vcc_hi, v27
	v_xor_b32_e32 v27, vcc_lo, v27
	v_and_b32_e32 v29, v29, v27
	v_lshlrev_b32_e32 v27, 29, v28
	v_cmp_gt_i64_e32 vcc, 0, v[26:27]
	v_not_b32_e32 v27, v27
	v_ashrrev_i32_e32 v27, 31, v27
	v_and_b32_e32 v44, v44, v45
	v_xor_b32_e32 v45, vcc_hi, v27
	v_xor_b32_e32 v27, vcc_lo, v27
	v_and_b32_e32 v29, v29, v27
	v_lshlrev_b32_e32 v27, 28, v28
	v_cmp_gt_i64_e32 vcc, 0, v[26:27]
	v_not_b32_e32 v27, v27
	v_ashrrev_i32_e32 v27, 31, v27
	v_and_b32_e32 v44, v44, v45
	;; [unrolled: 8-line block ×5, first 2 shown]
	v_xor_b32_e32 v45, vcc_hi, v27
	v_xor_b32_e32 v27, vcc_lo, v27
	v_and_b32_e32 v29, v29, v27
	v_lshlrev_b32_e32 v27, 24, v28
	v_cmp_gt_i64_e32 vcc, 0, v[26:27]
	v_not_b32_e32 v26, v27
	v_ashrrev_i32_e32 v26, 31, v26
	v_xor_b32_e32 v27, vcc_hi, v26
	v_xor_b32_e32 v26, vcc_lo, v26
	; wave barrier
	ds_read_b32 v42, v43 offset:16
	v_and_b32_e32 v44, v44, v45
	v_and_b32_e32 v26, v29, v26
	;; [unrolled: 1-line block ×3, first 2 shown]
	v_mbcnt_lo_u32_b32 v28, v26, 0
	v_mbcnt_hi_u32_b32 v44, v27, v28
	v_cmp_eq_u32_e32 vcc, 0, v44
	v_cmp_ne_u64_e64 s[0:1], 0, v[26:27]
	s_and_b64 s[2:3], s[0:1], vcc
	; wave barrier
	s_and_saveexec_b64 s[0:1], s[2:3]
	s_cbranch_execz .LBB14_138
; %bb.137:
	v_bcnt_u32_b32 v26, v26, 0
	v_bcnt_u32_b32 v26, v27, v26
	s_waitcnt lgkmcnt(0)
	v_add_u32_e32 v26, v42, v26
	ds_write_b32 v43, v26 offset:16
.LBB14_138:
	s_or_b64 exec, exec, s[0:1]
	s_waitcnt vmcnt(7)
	v_xor_b32_e32 v15, 0x7fffffff, v15
	v_not_b32_e32 v14, v14
	v_lshrrev_b64 v[26:27], s68, v[14:15]
	v_and_b32_e32 v28, s9, v26
	v_and_b32_e32 v27, 1, v28
	v_add_co_u32_e32 v29, vcc, -1, v27
	v_addc_co_u32_e64 v47, s[0:1], 0, -1, vcc
	v_cmp_ne_u32_e32 vcc, 0, v27
	v_lshl_add_u32 v26, v28, 2, v28
	v_xor_b32_e32 v27, vcc_hi, v47
	v_add_lshl_u32 v46, v39, v26, 2
	v_mov_b32_e32 v26, 0
	v_and_b32_e32 v47, exec_hi, v27
	v_lshlrev_b32_e32 v27, 30, v28
	v_xor_b32_e32 v29, vcc_lo, v29
	v_cmp_gt_i64_e32 vcc, 0, v[26:27]
	v_not_b32_e32 v27, v27
	v_ashrrev_i32_e32 v27, 31, v27
	v_and_b32_e32 v29, exec_lo, v29
	v_xor_b32_e32 v48, vcc_hi, v27
	v_xor_b32_e32 v27, vcc_lo, v27
	v_and_b32_e32 v29, v29, v27
	v_lshlrev_b32_e32 v27, 29, v28
	v_cmp_gt_i64_e32 vcc, 0, v[26:27]
	v_not_b32_e32 v27, v27
	v_ashrrev_i32_e32 v27, 31, v27
	v_and_b32_e32 v47, v47, v48
	v_xor_b32_e32 v48, vcc_hi, v27
	v_xor_b32_e32 v27, vcc_lo, v27
	v_and_b32_e32 v29, v29, v27
	v_lshlrev_b32_e32 v27, 28, v28
	v_cmp_gt_i64_e32 vcc, 0, v[26:27]
	v_not_b32_e32 v27, v27
	v_ashrrev_i32_e32 v27, 31, v27
	v_and_b32_e32 v47, v47, v48
	;; [unrolled: 8-line block ×5, first 2 shown]
	v_xor_b32_e32 v48, vcc_hi, v27
	v_xor_b32_e32 v27, vcc_lo, v27
	v_and_b32_e32 v47, v47, v48
	v_and_b32_e32 v48, v29, v27
	v_lshlrev_b32_e32 v27, 24, v28
	v_cmp_gt_i64_e32 vcc, 0, v[26:27]
	v_not_b32_e32 v27, v27
	v_ashrrev_i32_e32 v27, 31, v27
	v_xor_b32_e32 v28, vcc_hi, v27
	v_xor_b32_e32 v27, vcc_lo, v27
	; wave barrier
	ds_read_b32 v45, v46 offset:16
	v_and_b32_e32 v29, v47, v28
	v_and_b32_e32 v28, v48, v27
	v_mbcnt_lo_u32_b32 v27, v28, 0
	v_mbcnt_hi_u32_b32 v47, v29, v27
	v_cmp_eq_u32_e32 vcc, 0, v47
	v_cmp_ne_u64_e64 s[0:1], 0, v[28:29]
	s_and_b64 s[2:3], s[0:1], vcc
	; wave barrier
	s_and_saveexec_b64 s[0:1], s[2:3]
	s_cbranch_execz .LBB14_140
; %bb.139:
	v_bcnt_u32_b32 v27, v28, 0
	v_bcnt_u32_b32 v27, v29, v27
	s_waitcnt lgkmcnt(0)
	v_add_u32_e32 v27, v45, v27
	ds_write_b32 v46, v27 offset:16
.LBB14_140:
	s_or_b64 exec, exec, s[0:1]
	s_waitcnt vmcnt(6)
	v_xor_b32_e32 v19, 0x7fffffff, v19
	v_not_b32_e32 v18, v18
	v_lshrrev_b64 v[28:29], s68, v[18:19]
	v_and_b32_e32 v28, s9, v28
	v_lshl_add_u32 v27, v28, 2, v28
	v_add_lshl_u32 v49, v39, v27, 2
	v_and_b32_e32 v27, 1, v28
	v_add_co_u32_e32 v29, vcc, -1, v27
	v_addc_co_u32_e64 v50, s[0:1], 0, -1, vcc
	v_cmp_ne_u32_e32 vcc, 0, v27
	v_xor_b32_e32 v27, vcc_hi, v50
	v_and_b32_e32 v50, exec_hi, v27
	v_lshlrev_b32_e32 v27, 30, v28
	v_xor_b32_e32 v29, vcc_lo, v29
	v_cmp_gt_i64_e32 vcc, 0, v[26:27]
	v_not_b32_e32 v27, v27
	v_ashrrev_i32_e32 v27, 31, v27
	v_and_b32_e32 v29, exec_lo, v29
	v_xor_b32_e32 v51, vcc_hi, v27
	v_xor_b32_e32 v27, vcc_lo, v27
	v_and_b32_e32 v29, v29, v27
	v_lshlrev_b32_e32 v27, 29, v28
	v_cmp_gt_i64_e32 vcc, 0, v[26:27]
	v_not_b32_e32 v27, v27
	v_ashrrev_i32_e32 v27, 31, v27
	v_and_b32_e32 v50, v50, v51
	v_xor_b32_e32 v51, vcc_hi, v27
	v_xor_b32_e32 v27, vcc_lo, v27
	v_and_b32_e32 v29, v29, v27
	v_lshlrev_b32_e32 v27, 28, v28
	v_cmp_gt_i64_e32 vcc, 0, v[26:27]
	v_not_b32_e32 v27, v27
	v_ashrrev_i32_e32 v27, 31, v27
	v_and_b32_e32 v50, v50, v51
	;; [unrolled: 8-line block ×5, first 2 shown]
	v_xor_b32_e32 v51, vcc_hi, v27
	v_xor_b32_e32 v27, vcc_lo, v27
	v_and_b32_e32 v29, v29, v27
	v_lshlrev_b32_e32 v27, 24, v28
	v_cmp_gt_i64_e32 vcc, 0, v[26:27]
	v_not_b32_e32 v26, v27
	v_ashrrev_i32_e32 v26, 31, v26
	v_xor_b32_e32 v27, vcc_hi, v26
	v_xor_b32_e32 v26, vcc_lo, v26
	; wave barrier
	ds_read_b32 v48, v49 offset:16
	v_and_b32_e32 v50, v50, v51
	v_and_b32_e32 v26, v29, v26
	;; [unrolled: 1-line block ×3, first 2 shown]
	v_mbcnt_lo_u32_b32 v28, v26, 0
	v_mbcnt_hi_u32_b32 v50, v27, v28
	v_cmp_eq_u32_e32 vcc, 0, v50
	v_cmp_ne_u64_e64 s[0:1], 0, v[26:27]
	s_and_b64 s[2:3], s[0:1], vcc
	; wave barrier
	s_and_saveexec_b64 s[0:1], s[2:3]
	s_cbranch_execz .LBB14_142
; %bb.141:
	v_bcnt_u32_b32 v26, v26, 0
	v_bcnt_u32_b32 v26, v27, v26
	s_waitcnt lgkmcnt(0)
	v_add_u32_e32 v26, v48, v26
	ds_write_b32 v49, v26 offset:16
.LBB14_142:
	s_or_b64 exec, exec, s[0:1]
	s_waitcnt vmcnt(5)
	v_xor_b32_e32 v23, 0x7fffffff, v23
	v_not_b32_e32 v22, v22
	v_lshrrev_b64 v[26:27], s68, v[22:23]
	v_and_b32_e32 v28, s9, v26
	v_and_b32_e32 v27, 1, v28
	v_add_co_u32_e32 v29, vcc, -1, v27
	v_addc_co_u32_e64 v53, s[0:1], 0, -1, vcc
	v_cmp_ne_u32_e32 vcc, 0, v27
	v_lshl_add_u32 v26, v28, 2, v28
	v_xor_b32_e32 v27, vcc_hi, v53
	v_add_lshl_u32 v52, v39, v26, 2
	v_mov_b32_e32 v26, 0
	v_and_b32_e32 v53, exec_hi, v27
	v_lshlrev_b32_e32 v27, 30, v28
	v_xor_b32_e32 v29, vcc_lo, v29
	v_cmp_gt_i64_e32 vcc, 0, v[26:27]
	v_not_b32_e32 v27, v27
	v_ashrrev_i32_e32 v27, 31, v27
	v_and_b32_e32 v29, exec_lo, v29
	v_xor_b32_e32 v54, vcc_hi, v27
	v_xor_b32_e32 v27, vcc_lo, v27
	v_and_b32_e32 v29, v29, v27
	v_lshlrev_b32_e32 v27, 29, v28
	v_cmp_gt_i64_e32 vcc, 0, v[26:27]
	v_not_b32_e32 v27, v27
	v_ashrrev_i32_e32 v27, 31, v27
	v_and_b32_e32 v53, v53, v54
	v_xor_b32_e32 v54, vcc_hi, v27
	v_xor_b32_e32 v27, vcc_lo, v27
	v_and_b32_e32 v29, v29, v27
	v_lshlrev_b32_e32 v27, 28, v28
	v_cmp_gt_i64_e32 vcc, 0, v[26:27]
	v_not_b32_e32 v27, v27
	v_ashrrev_i32_e32 v27, 31, v27
	v_and_b32_e32 v53, v53, v54
	;; [unrolled: 8-line block ×5, first 2 shown]
	v_xor_b32_e32 v54, vcc_hi, v27
	v_xor_b32_e32 v27, vcc_lo, v27
	v_and_b32_e32 v53, v53, v54
	v_and_b32_e32 v54, v29, v27
	v_lshlrev_b32_e32 v27, 24, v28
	v_cmp_gt_i64_e32 vcc, 0, v[26:27]
	v_not_b32_e32 v27, v27
	v_ashrrev_i32_e32 v27, 31, v27
	v_xor_b32_e32 v28, vcc_hi, v27
	v_xor_b32_e32 v27, vcc_lo, v27
	; wave barrier
	ds_read_b32 v51, v52 offset:16
	v_and_b32_e32 v29, v53, v28
	v_and_b32_e32 v28, v54, v27
	v_mbcnt_lo_u32_b32 v27, v28, 0
	v_mbcnt_hi_u32_b32 v53, v29, v27
	v_cmp_eq_u32_e32 vcc, 0, v53
	v_cmp_ne_u64_e64 s[0:1], 0, v[28:29]
	s_and_b64 s[2:3], s[0:1], vcc
	; wave barrier
	s_and_saveexec_b64 s[0:1], s[2:3]
	s_cbranch_execz .LBB14_144
; %bb.143:
	v_bcnt_u32_b32 v27, v28, 0
	v_bcnt_u32_b32 v27, v29, v27
	s_waitcnt lgkmcnt(0)
	v_add_u32_e32 v27, v51, v27
	ds_write_b32 v52, v27 offset:16
.LBB14_144:
	s_or_b64 exec, exec, s[0:1]
	s_waitcnt vmcnt(4)
	v_xor_b32_e32 v25, 0x7fffffff, v25
	v_not_b32_e32 v24, v24
	v_lshrrev_b64 v[28:29], s68, v[24:25]
	v_and_b32_e32 v28, s9, v28
	v_lshl_add_u32 v27, v28, 2, v28
	v_add_lshl_u32 v55, v39, v27, 2
	v_and_b32_e32 v27, 1, v28
	v_add_co_u32_e32 v29, vcc, -1, v27
	v_addc_co_u32_e64 v56, s[0:1], 0, -1, vcc
	v_cmp_ne_u32_e32 vcc, 0, v27
	v_xor_b32_e32 v27, vcc_hi, v56
	v_and_b32_e32 v56, exec_hi, v27
	v_lshlrev_b32_e32 v27, 30, v28
	v_xor_b32_e32 v29, vcc_lo, v29
	v_cmp_gt_i64_e32 vcc, 0, v[26:27]
	v_not_b32_e32 v27, v27
	v_ashrrev_i32_e32 v27, 31, v27
	v_and_b32_e32 v29, exec_lo, v29
	v_xor_b32_e32 v57, vcc_hi, v27
	v_xor_b32_e32 v27, vcc_lo, v27
	v_and_b32_e32 v29, v29, v27
	v_lshlrev_b32_e32 v27, 29, v28
	v_cmp_gt_i64_e32 vcc, 0, v[26:27]
	v_not_b32_e32 v27, v27
	v_ashrrev_i32_e32 v27, 31, v27
	v_and_b32_e32 v56, v56, v57
	v_xor_b32_e32 v57, vcc_hi, v27
	v_xor_b32_e32 v27, vcc_lo, v27
	v_and_b32_e32 v29, v29, v27
	v_lshlrev_b32_e32 v27, 28, v28
	v_cmp_gt_i64_e32 vcc, 0, v[26:27]
	v_not_b32_e32 v27, v27
	v_ashrrev_i32_e32 v27, 31, v27
	v_and_b32_e32 v56, v56, v57
	;; [unrolled: 8-line block ×5, first 2 shown]
	v_xor_b32_e32 v57, vcc_hi, v27
	v_xor_b32_e32 v27, vcc_lo, v27
	v_and_b32_e32 v29, v29, v27
	v_lshlrev_b32_e32 v27, 24, v28
	v_cmp_gt_i64_e32 vcc, 0, v[26:27]
	v_not_b32_e32 v26, v27
	v_ashrrev_i32_e32 v26, 31, v26
	v_xor_b32_e32 v27, vcc_hi, v26
	v_xor_b32_e32 v26, vcc_lo, v26
	; wave barrier
	ds_read_b32 v54, v55 offset:16
	v_and_b32_e32 v56, v56, v57
	v_and_b32_e32 v26, v29, v26
	;; [unrolled: 1-line block ×3, first 2 shown]
	v_mbcnt_lo_u32_b32 v28, v26, 0
	v_mbcnt_hi_u32_b32 v56, v27, v28
	v_cmp_eq_u32_e32 vcc, 0, v56
	v_cmp_ne_u64_e64 s[0:1], 0, v[26:27]
	s_and_b64 s[2:3], s[0:1], vcc
	; wave barrier
	s_and_saveexec_b64 s[0:1], s[2:3]
	s_cbranch_execz .LBB14_146
; %bb.145:
	v_bcnt_u32_b32 v26, v26, 0
	v_bcnt_u32_b32 v26, v27, v26
	s_waitcnt lgkmcnt(0)
	v_add_u32_e32 v26, v54, v26
	ds_write_b32 v55, v26 offset:16
.LBB14_146:
	s_or_b64 exec, exec, s[0:1]
	s_waitcnt vmcnt(3)
	v_xor_b32_e32 v21, 0x7fffffff, v21
	v_not_b32_e32 v20, v20
	v_lshrrev_b64 v[26:27], s68, v[20:21]
	v_and_b32_e32 v28, s9, v26
	v_and_b32_e32 v27, 1, v28
	v_add_co_u32_e32 v29, vcc, -1, v27
	v_addc_co_u32_e64 v59, s[0:1], 0, -1, vcc
	v_cmp_ne_u32_e32 vcc, 0, v27
	v_lshl_add_u32 v26, v28, 2, v28
	v_xor_b32_e32 v27, vcc_hi, v59
	v_add_lshl_u32 v58, v39, v26, 2
	v_mov_b32_e32 v26, 0
	v_and_b32_e32 v59, exec_hi, v27
	v_lshlrev_b32_e32 v27, 30, v28
	v_xor_b32_e32 v29, vcc_lo, v29
	v_cmp_gt_i64_e32 vcc, 0, v[26:27]
	v_not_b32_e32 v27, v27
	v_ashrrev_i32_e32 v27, 31, v27
	v_and_b32_e32 v29, exec_lo, v29
	v_xor_b32_e32 v60, vcc_hi, v27
	v_xor_b32_e32 v27, vcc_lo, v27
	v_and_b32_e32 v29, v29, v27
	v_lshlrev_b32_e32 v27, 29, v28
	v_cmp_gt_i64_e32 vcc, 0, v[26:27]
	v_not_b32_e32 v27, v27
	v_ashrrev_i32_e32 v27, 31, v27
	v_and_b32_e32 v59, v59, v60
	v_xor_b32_e32 v60, vcc_hi, v27
	v_xor_b32_e32 v27, vcc_lo, v27
	v_and_b32_e32 v29, v29, v27
	v_lshlrev_b32_e32 v27, 28, v28
	v_cmp_gt_i64_e32 vcc, 0, v[26:27]
	v_not_b32_e32 v27, v27
	v_ashrrev_i32_e32 v27, 31, v27
	v_and_b32_e32 v59, v59, v60
	;; [unrolled: 8-line block ×5, first 2 shown]
	v_xor_b32_e32 v60, vcc_hi, v27
	v_xor_b32_e32 v27, vcc_lo, v27
	v_and_b32_e32 v59, v59, v60
	v_and_b32_e32 v60, v29, v27
	v_lshlrev_b32_e32 v27, 24, v28
	v_cmp_gt_i64_e32 vcc, 0, v[26:27]
	v_not_b32_e32 v27, v27
	v_ashrrev_i32_e32 v27, 31, v27
	v_xor_b32_e32 v28, vcc_hi, v27
	v_xor_b32_e32 v27, vcc_lo, v27
	; wave barrier
	ds_read_b32 v57, v58 offset:16
	v_and_b32_e32 v29, v59, v28
	v_and_b32_e32 v28, v60, v27
	v_mbcnt_lo_u32_b32 v27, v28, 0
	v_mbcnt_hi_u32_b32 v59, v29, v27
	v_cmp_eq_u32_e32 vcc, 0, v59
	v_cmp_ne_u64_e64 s[0:1], 0, v[28:29]
	s_and_b64 s[2:3], s[0:1], vcc
	; wave barrier
	s_and_saveexec_b64 s[0:1], s[2:3]
	s_cbranch_execz .LBB14_148
; %bb.147:
	v_bcnt_u32_b32 v27, v28, 0
	v_bcnt_u32_b32 v27, v29, v27
	s_waitcnt lgkmcnt(0)
	v_add_u32_e32 v27, v57, v27
	ds_write_b32 v58, v27 offset:16
.LBB14_148:
	s_or_b64 exec, exec, s[0:1]
	s_waitcnt vmcnt(2)
	v_xor_b32_e32 v17, 0x7fffffff, v17
	v_not_b32_e32 v16, v16
	v_lshrrev_b64 v[28:29], s68, v[16:17]
	v_and_b32_e32 v28, s9, v28
	v_lshl_add_u32 v27, v28, 2, v28
	v_add_lshl_u32 v61, v39, v27, 2
	v_and_b32_e32 v27, 1, v28
	v_add_co_u32_e32 v29, vcc, -1, v27
	v_addc_co_u32_e64 v62, s[0:1], 0, -1, vcc
	v_cmp_ne_u32_e32 vcc, 0, v27
	v_xor_b32_e32 v27, vcc_hi, v62
	v_and_b32_e32 v62, exec_hi, v27
	v_lshlrev_b32_e32 v27, 30, v28
	v_xor_b32_e32 v29, vcc_lo, v29
	v_cmp_gt_i64_e32 vcc, 0, v[26:27]
	v_not_b32_e32 v27, v27
	v_ashrrev_i32_e32 v27, 31, v27
	v_and_b32_e32 v29, exec_lo, v29
	v_xor_b32_e32 v63, vcc_hi, v27
	v_xor_b32_e32 v27, vcc_lo, v27
	v_and_b32_e32 v29, v29, v27
	v_lshlrev_b32_e32 v27, 29, v28
	v_cmp_gt_i64_e32 vcc, 0, v[26:27]
	v_not_b32_e32 v27, v27
	v_ashrrev_i32_e32 v27, 31, v27
	v_and_b32_e32 v62, v62, v63
	v_xor_b32_e32 v63, vcc_hi, v27
	v_xor_b32_e32 v27, vcc_lo, v27
	v_and_b32_e32 v29, v29, v27
	v_lshlrev_b32_e32 v27, 28, v28
	v_cmp_gt_i64_e32 vcc, 0, v[26:27]
	v_not_b32_e32 v27, v27
	v_ashrrev_i32_e32 v27, 31, v27
	v_and_b32_e32 v62, v62, v63
	;; [unrolled: 8-line block ×5, first 2 shown]
	v_xor_b32_e32 v63, vcc_hi, v27
	v_xor_b32_e32 v27, vcc_lo, v27
	v_and_b32_e32 v29, v29, v27
	v_lshlrev_b32_e32 v27, 24, v28
	v_cmp_gt_i64_e32 vcc, 0, v[26:27]
	v_not_b32_e32 v26, v27
	v_ashrrev_i32_e32 v26, 31, v26
	v_xor_b32_e32 v27, vcc_hi, v26
	v_xor_b32_e32 v26, vcc_lo, v26
	; wave barrier
	ds_read_b32 v60, v61 offset:16
	v_and_b32_e32 v62, v62, v63
	v_and_b32_e32 v26, v29, v26
	;; [unrolled: 1-line block ×3, first 2 shown]
	v_mbcnt_lo_u32_b32 v28, v26, 0
	v_mbcnt_hi_u32_b32 v62, v27, v28
	v_cmp_eq_u32_e32 vcc, 0, v62
	v_cmp_ne_u64_e64 s[0:1], 0, v[26:27]
	s_and_b64 s[2:3], s[0:1], vcc
	; wave barrier
	s_and_saveexec_b64 s[0:1], s[2:3]
	s_cbranch_execz .LBB14_150
; %bb.149:
	v_bcnt_u32_b32 v26, v26, 0
	v_bcnt_u32_b32 v26, v27, v26
	s_waitcnt lgkmcnt(0)
	v_add_u32_e32 v26, v60, v26
	ds_write_b32 v61, v26 offset:16
.LBB14_150:
	s_or_b64 exec, exec, s[0:1]
	s_waitcnt vmcnt(1)
	v_xor_b32_e32 v13, 0x7fffffff, v13
	v_not_b32_e32 v12, v12
	v_lshrrev_b64 v[26:27], s68, v[12:13]
	v_and_b32_e32 v26, s9, v26
	v_lshl_add_u32 v27, v26, 2, v26
	v_add_lshl_u32 v64, v39, v27, 2
	v_and_b32_e32 v27, 1, v26
	v_add_co_u32_e32 v29, vcc, -1, v27
	v_addc_co_u32_e64 v65, s[0:1], 0, -1, vcc
	v_cmp_ne_u32_e32 vcc, 0, v27
	v_xor_b32_e32 v29, vcc_lo, v29
	v_mov_b32_e32 v28, 0
	v_xor_b32_e32 v27, vcc_hi, v65
	v_and_b32_e32 v65, exec_lo, v29
	v_lshlrev_b32_e32 v29, 30, v26
	v_cmp_gt_i64_e32 vcc, 0, v[28:29]
	v_not_b32_e32 v29, v29
	v_ashrrev_i32_e32 v29, 31, v29
	v_xor_b32_e32 v66, vcc_hi, v29
	v_xor_b32_e32 v29, vcc_lo, v29
	v_and_b32_e32 v65, v65, v29
	v_lshlrev_b32_e32 v29, 29, v26
	v_cmp_gt_i64_e32 vcc, 0, v[28:29]
	v_not_b32_e32 v29, v29
	v_and_b32_e32 v27, exec_hi, v27
	v_ashrrev_i32_e32 v29, 31, v29
	v_and_b32_e32 v27, v27, v66
	v_xor_b32_e32 v66, vcc_hi, v29
	v_xor_b32_e32 v29, vcc_lo, v29
	v_and_b32_e32 v65, v65, v29
	v_lshlrev_b32_e32 v29, 28, v26
	v_cmp_gt_i64_e32 vcc, 0, v[28:29]
	v_not_b32_e32 v29, v29
	v_ashrrev_i32_e32 v29, 31, v29
	v_and_b32_e32 v27, v27, v66
	v_xor_b32_e32 v66, vcc_hi, v29
	v_xor_b32_e32 v29, vcc_lo, v29
	v_and_b32_e32 v65, v65, v29
	v_lshlrev_b32_e32 v29, 27, v26
	v_cmp_gt_i64_e32 vcc, 0, v[28:29]
	v_not_b32_e32 v29, v29
	;; [unrolled: 8-line block ×4, first 2 shown]
	v_ashrrev_i32_e32 v29, 31, v29
	v_and_b32_e32 v27, v27, v66
	v_xor_b32_e32 v66, vcc_hi, v29
	v_xor_b32_e32 v29, vcc_lo, v29
	v_and_b32_e32 v65, v65, v29
	v_lshlrev_b32_e32 v29, 24, v26
	v_not_b32_e32 v26, v29
	v_cmp_gt_i64_e32 vcc, 0, v[28:29]
	v_ashrrev_i32_e32 v26, 31, v26
	v_xor_b32_e32 v29, vcc_hi, v26
	v_xor_b32_e32 v26, vcc_lo, v26
	; wave barrier
	ds_read_b32 v63, v64 offset:16
	v_and_b32_e32 v27, v27, v66
	v_and_b32_e32 v26, v65, v26
	;; [unrolled: 1-line block ×3, first 2 shown]
	v_mbcnt_lo_u32_b32 v29, v26, 0
	v_mbcnt_hi_u32_b32 v65, v27, v29
	v_cmp_eq_u32_e32 vcc, 0, v65
	v_cmp_ne_u64_e64 s[0:1], 0, v[26:27]
	s_and_b64 s[2:3], s[0:1], vcc
	; wave barrier
	s_and_saveexec_b64 s[0:1], s[2:3]
	s_cbranch_execz .LBB14_152
; %bb.151:
	v_bcnt_u32_b32 v26, v26, 0
	v_bcnt_u32_b32 v26, v27, v26
	s_waitcnt lgkmcnt(0)
	v_add_u32_e32 v26, v63, v26
	ds_write_b32 v64, v26 offset:16
.LBB14_152:
	s_or_b64 exec, exec, s[0:1]
	s_waitcnt vmcnt(0)
	v_xor_b32_e32 v27, 0x7fffffff, v5
	v_not_b32_e32 v26, v4
	v_lshrrev_b64 v[4:5], s68, v[26:27]
	v_and_b32_e32 v4, s9, v4
	v_lshl_add_u32 v5, v4, 2, v4
	v_add_lshl_u32 v39, v39, v5, 2
	v_and_b32_e32 v5, 1, v4
	v_add_co_u32_e32 v29, vcc, -1, v5
	v_addc_co_u32_e64 v68, s[0:1], 0, -1, vcc
	v_cmp_ne_u32_e32 vcc, 0, v5
	v_xor_b32_e32 v29, vcc_lo, v29
	v_xor_b32_e32 v5, vcc_hi, v68
	v_and_b32_e32 v68, exec_lo, v29
	v_lshlrev_b32_e32 v29, 30, v4
	v_cmp_gt_i64_e32 vcc, 0, v[28:29]
	v_not_b32_e32 v29, v29
	v_ashrrev_i32_e32 v29, 31, v29
	v_xor_b32_e32 v69, vcc_hi, v29
	v_xor_b32_e32 v29, vcc_lo, v29
	v_and_b32_e32 v68, v68, v29
	v_lshlrev_b32_e32 v29, 29, v4
	v_cmp_gt_i64_e32 vcc, 0, v[28:29]
	v_not_b32_e32 v29, v29
	v_and_b32_e32 v5, exec_hi, v5
	v_ashrrev_i32_e32 v29, 31, v29
	v_and_b32_e32 v5, v5, v69
	v_xor_b32_e32 v69, vcc_hi, v29
	v_xor_b32_e32 v29, vcc_lo, v29
	v_and_b32_e32 v68, v68, v29
	v_lshlrev_b32_e32 v29, 28, v4
	v_cmp_gt_i64_e32 vcc, 0, v[28:29]
	v_not_b32_e32 v29, v29
	v_ashrrev_i32_e32 v29, 31, v29
	v_and_b32_e32 v5, v5, v69
	v_xor_b32_e32 v69, vcc_hi, v29
	v_xor_b32_e32 v29, vcc_lo, v29
	v_and_b32_e32 v68, v68, v29
	v_lshlrev_b32_e32 v29, 27, v4
	v_cmp_gt_i64_e32 vcc, 0, v[28:29]
	v_not_b32_e32 v29, v29
	;; [unrolled: 8-line block ×4, first 2 shown]
	v_ashrrev_i32_e32 v29, 31, v29
	v_and_b32_e32 v5, v5, v69
	v_xor_b32_e32 v69, vcc_hi, v29
	v_xor_b32_e32 v29, vcc_lo, v29
	v_and_b32_e32 v68, v68, v29
	v_lshlrev_b32_e32 v29, 24, v4
	v_not_b32_e32 v4, v29
	v_cmp_gt_i64_e32 vcc, 0, v[28:29]
	v_ashrrev_i32_e32 v4, 31, v4
	v_xor_b32_e32 v28, vcc_hi, v4
	v_xor_b32_e32 v4, vcc_lo, v4
	; wave barrier
	ds_read_b32 v66, v39 offset:16
	v_and_b32_e32 v5, v5, v69
	v_and_b32_e32 v4, v68, v4
	v_and_b32_e32 v5, v5, v28
	v_mbcnt_lo_u32_b32 v28, v4, 0
	v_mbcnt_hi_u32_b32 v68, v5, v28
	v_cmp_eq_u32_e32 vcc, 0, v68
	v_cmp_ne_u64_e64 s[0:1], 0, v[4:5]
	v_add_u32_e32 v67, 16, v31
	s_and_b64 s[2:3], s[0:1], vcc
	; wave barrier
	s_and_saveexec_b64 s[0:1], s[2:3]
	s_cbranch_execz .LBB14_154
; %bb.153:
	v_bcnt_u32_b32 v4, v4, 0
	v_bcnt_u32_b32 v4, v5, v4
	s_waitcnt lgkmcnt(0)
	v_add_u32_e32 v4, v66, v4
	ds_write_b32 v39, v4 offset:16
.LBB14_154:
	s_or_b64 exec, exec, s[0:1]
	; wave barrier
	s_waitcnt lgkmcnt(0)
	s_barrier
	ds_read2_b32 v[28:29], v31 offset0:4 offset1:5
	ds_read2_b32 v[4:5], v67 offset0:2 offset1:3
	ds_read_b32 v69, v67 offset:16
	v_min_u32_e32 v32, 0xc0, v32
	v_or_b32_e32 v32, 63, v32
	s_waitcnt lgkmcnt(1)
	v_add3_u32 v70, v29, v28, v4
	s_waitcnt lgkmcnt(0)
	v_add3_u32 v69, v70, v5, v69
	v_and_b32_e32 v70, 15, v3
	v_cmp_ne_u32_e32 vcc, 0, v70
	v_mov_b32_dpp v71, v69 row_shr:1 row_mask:0xf bank_mask:0xf
	v_cndmask_b32_e32 v71, 0, v71, vcc
	v_add_u32_e32 v69, v71, v69
	v_cmp_lt_u32_e32 vcc, 1, v70
	s_nop 0
	v_mov_b32_dpp v71, v69 row_shr:2 row_mask:0xf bank_mask:0xf
	v_cndmask_b32_e32 v71, 0, v71, vcc
	v_add_u32_e32 v69, v69, v71
	v_cmp_lt_u32_e32 vcc, 3, v70
	s_nop 0
	;; [unrolled: 5-line block ×3, first 2 shown]
	v_mov_b32_dpp v71, v69 row_shr:8 row_mask:0xf bank_mask:0xf
	v_cndmask_b32_e32 v70, 0, v71, vcc
	v_add_u32_e32 v69, v69, v70
	v_bfe_i32 v71, v3, 4, 1
	v_cmp_lt_u32_e32 vcc, 31, v3
	v_mov_b32_dpp v70, v69 row_bcast:15 row_mask:0xf bank_mask:0xf
	v_and_b32_e32 v70, v71, v70
	v_add_u32_e32 v69, v69, v70
	s_nop 1
	v_mov_b32_dpp v70, v69 row_bcast:31 row_mask:0xf bank_mask:0xf
	v_cndmask_b32_e32 v70, 0, v70, vcc
	v_add_u32_e32 v69, v69, v70
	v_lshrrev_b32_e32 v70, 6, v2
	v_cmp_eq_u32_e32 vcc, v32, v2
	s_and_saveexec_b64 s[0:1], vcc
	s_cbranch_execz .LBB14_156
; %bb.155:
	v_lshlrev_b32_e32 v32, 2, v70
	ds_write_b32 v32, v69
.LBB14_156:
	s_or_b64 exec, exec, s[0:1]
	v_cmp_gt_u32_e32 vcc, 4, v2
	s_waitcnt lgkmcnt(0)
	s_barrier
	s_and_saveexec_b64 s[0:1], vcc
	s_cbranch_execz .LBB14_158
; %bb.157:
	v_lshlrev_b32_e32 v32, 2, v2
	ds_read_b32 v71, v32
	v_and_b32_e32 v72, 3, v3
	v_cmp_ne_u32_e32 vcc, 0, v72
	s_waitcnt lgkmcnt(0)
	v_mov_b32_dpp v73, v71 row_shr:1 row_mask:0xf bank_mask:0xf
	v_cndmask_b32_e32 v73, 0, v73, vcc
	v_add_u32_e32 v71, v73, v71
	v_cmp_lt_u32_e32 vcc, 1, v72
	s_nop 0
	v_mov_b32_dpp v73, v71 row_shr:2 row_mask:0xf bank_mask:0xf
	v_cndmask_b32_e32 v72, 0, v73, vcc
	v_add_u32_e32 v71, v71, v72
	ds_write_b32 v32, v71
.LBB14_158:
	s_or_b64 exec, exec, s[0:1]
	v_cmp_lt_u32_e32 vcc, 63, v2
	v_mov_b32_e32 v32, 0
	s_waitcnt lgkmcnt(0)
	s_barrier
	s_and_saveexec_b64 s[0:1], vcc
	s_cbranch_execz .LBB14_160
; %bb.159:
	v_lshl_add_u32 v32, v70, 2, -4
	ds_read_b32 v32, v32
.LBB14_160:
	s_or_b64 exec, exec, s[0:1]
	v_add_u32_e32 v70, -1, v3
	v_and_b32_e32 v71, 64, v3
	v_cmp_lt_i32_e32 vcc, v70, v71
	v_cndmask_b32_e32 v70, v70, v3, vcc
	s_waitcnt lgkmcnt(0)
	v_add_u32_e32 v69, v32, v69
	v_lshlrev_b32_e32 v70, 2, v70
	ds_bpermute_b32 v69, v70, v69
	v_cmp_eq_u32_e32 vcc, 0, v3
	s_movk_i32 s0, 0x100
	s_waitcnt lgkmcnt(0)
	v_cndmask_b32_e32 v32, v69, v32, vcc
	v_cmp_ne_u32_e32 vcc, 0, v2
	v_cndmask_b32_e32 v32, 0, v32, vcc
	v_add_u32_e32 v28, v32, v28
	v_add_u32_e32 v29, v28, v29
	;; [unrolled: 1-line block ×4, first 2 shown]
	ds_write2_b32 v31, v32, v28 offset0:4 offset1:5
	ds_write2_b32 v67, v29, v4 offset0:2 offset1:3
	ds_write_b32 v67, v5 offset:16
	s_waitcnt lgkmcnt(0)
	s_barrier
	ds_read_b32 v29, v36 offset:16
	ds_read_b32 v32, v40 offset:16
	;; [unrolled: 1-line block ×13, first 2 shown]
	v_add_u32_e32 v31, 1, v2
	v_cmp_ne_u32_e32 vcc, s0, v31
	v_mov_b32_e32 v5, 0xc00
	s_and_saveexec_b64 s[0:1], vcc
	s_cbranch_execz .LBB14_162
; %bb.161:
	v_mul_u32_u24_e32 v5, 5, v31
	v_lshlrev_b32_e32 v5, 2, v5
	ds_read_b32 v5, v5 offset:16
.LBB14_162:
	s_or_b64 exec, exec, s[0:1]
	s_waitcnt lgkmcnt(1)
	v_add_u32_e32 v28, v28, v34
	v_add3_u32 v29, v37, v35, v29
	v_add3_u32 v31, v41, v38, v32
	v_lshlrev_b32_e32 v41, 3, v28
	s_waitcnt lgkmcnt(0)
	s_barrier
	ds_write_b64 v41, v[0:1] offset:2048
	v_lshlrev_b32_e32 v0, 3, v29
	v_add3_u32 v32, v44, v42, v36
	ds_write_b64 v0, v[6:7] offset:2048
	v_lshlrev_b32_e32 v0, 3, v31
	v_add3_u32 v33, v47, v45, v40
	;; [unrolled: 3-line block ×9, first 2 shown]
	ds_write_b64 v0, v[16:17] offset:2048
	v_lshlrev_b32_e32 v0, 3, v39
	ds_write_b64 v0, v[12:13] offset:2048
	v_lshlrev_b32_e32 v0, 3, v40
	ds_write_b64 v0, v[26:27] offset:2048
	v_lshl_add_u32 v0, s6, 8, v2
	v_mov_b32_e32 v1, 0
	v_lshlrev_b64 v[6:7], 2, v[0:1]
	v_sub_u32_e32 v12, v5, v4
	v_mov_b32_e32 v10, s73
	v_add_co_u32_e32 v6, vcc, s72, v6
	v_addc_co_u32_e32 v7, vcc, v10, v7, vcc
	v_or_b32_e32 v0, 2.0, v12
	s_mov_b64 s[0:1], 0
	s_brev_b32 s10, 1
	v_mov_b32_e32 v5, 0
	s_waitcnt lgkmcnt(0)
	s_barrier
	global_store_dword v[6:7], v0, off
                                        ; implicit-def: $sgpr2_sgpr3
	s_branch .LBB14_165
.LBB14_163:                             ;   in Loop: Header=BB14_165 Depth=1
	s_or_b64 exec, exec, s[4:5]
.LBB14_164:                             ;   in Loop: Header=BB14_165 Depth=1
	s_or_b64 exec, exec, s[2:3]
	v_and_b32_e32 v8, 0x3fffffff, v11
	v_add_u32_e32 v5, v8, v5
	v_cmp_eq_u32_e64 s[2:3], s10, v0
	s_and_b64 s[4:5], exec, s[2:3]
	s_or_b64 s[0:1], s[4:5], s[0:1]
	s_andn2_b64 exec, exec, s[0:1]
	s_cbranch_execz .LBB14_170
.LBB14_165:                             ; =>This Loop Header: Depth=1
                                        ;     Child Loop BB14_168 Depth 2
	s_or_b64 s[2:3], s[2:3], exec
	s_cmp_eq_u32 s7, 0
	s_cbranch_scc1 .LBB14_169
; %bb.166:                              ;   in Loop: Header=BB14_165 Depth=1
	s_add_i32 s7, s7, -1
	v_lshl_add_u32 v0, s7, 8, v2
	v_lshlrev_b64 v[8:9], 2, v[0:1]
	v_add_co_u32_e32 v8, vcc, s72, v8
	v_addc_co_u32_e32 v9, vcc, v10, v9, vcc
	global_load_dword v11, v[8:9], off glc
	s_waitcnt vmcnt(0)
	v_and_b32_e32 v0, -2.0, v11
	v_cmp_eq_u32_e32 vcc, 0, v0
	s_and_saveexec_b64 s[2:3], vcc
	s_cbranch_execz .LBB14_164
; %bb.167:                              ;   in Loop: Header=BB14_165 Depth=1
	s_mov_b64 s[4:5], 0
.LBB14_168:                             ;   Parent Loop BB14_165 Depth=1
                                        ; =>  This Inner Loop Header: Depth=2
	global_load_dword v11, v[8:9], off glc
	s_waitcnt vmcnt(0)
	v_and_b32_e32 v0, -2.0, v11
	v_cmp_ne_u32_e32 vcc, 0, v0
	s_or_b64 s[4:5], vcc, s[4:5]
	s_andn2_b64 exec, exec, s[4:5]
	s_cbranch_execnz .LBB14_168
	s_branch .LBB14_163
.LBB14_169:                             ;   in Loop: Header=BB14_165 Depth=1
                                        ; implicit-def: $sgpr7
	s_and_b64 s[4:5], exec, s[2:3]
	s_or_b64 s[0:1], s[4:5], s[0:1]
	s_andn2_b64 exec, exec, s[0:1]
	s_cbranch_execnz .LBB14_165
.LBB14_170:
	s_or_b64 exec, exec, s[0:1]
	v_add_u32_e32 v0, v5, v12
	v_or_b32_e32 v0, 0x80000000, v0
	global_store_dword v[6:7], v0, off
	v_lshlrev_b32_e32 v8, 3, v2
	global_load_dwordx2 v[0:1], v8, s[64:65]
	v_sub_co_u32_e32 v5, vcc, v5, v4
	v_subb_co_u32_e64 v6, s[0:1], 0, 0, vcc
	v_mov_b32_e32 v9, s59
	v_mov_b32_e32 v13, s59
	;; [unrolled: 1-line block ×4, first 2 shown]
	v_add_u32_e32 v53, 0x1000, v8
	s_add_u32 s0, s60, s54
	s_addc_u32 s1, s61, 0
	s_add_i32 s8, s8, -1
	s_cmp_eq_u32 s6, s8
	s_waitcnt vmcnt(0)
	v_add_co_u32_e32 v0, vcc, v5, v0
	v_addc_co_u32_e32 v1, vcc, v6, v1, vcc
	ds_write_b64 v8, v[0:1]
	s_waitcnt lgkmcnt(0)
	s_barrier
	ds_read2st64_b64 v[14:17], v8 offset0:4 offset1:8
	ds_read2st64_b64 v[18:21], v8 offset0:12 offset1:16
	;; [unrolled: 1-line block ×4, first 2 shown]
	v_add_u32_e32 v5, 0x1800, v8
	s_waitcnt lgkmcnt(2)
	v_lshrrev_b64 v[26:27], s68, v[20:21]
	v_lshrrev_b64 v[0:1], s68, v[14:15]
	v_xor_b32_e32 v7, 0x7fffffff, v15
	v_xor_b32_e32 v6, -1, v14
	v_lshrrev_b64 v[10:11], s68, v[16:17]
	v_xor_b32_e32 v15, 0x7fffffff, v17
	v_xor_b32_e32 v14, -1, v16
	v_lshrrev_b64 v[16:17], s68, v[18:19]
	s_waitcnt lgkmcnt(1)
	v_lshrrev_b64 v[46:47], s68, v[22:23]
	v_lshrrev_b64 v[48:49], s68, v[24:25]
	v_and_b32_e32 v0, s9, v0
	s_waitcnt lgkmcnt(0)
	v_lshrrev_b64 v[50:51], s68, v[42:43]
	v_and_b32_e32 v1, s9, v10
	v_and_b32_e32 v10, s9, v16
	;; [unrolled: 1-line block ×5, first 2 shown]
	v_lshlrev_b32_e32 v48, 3, v0
	v_and_b32_e32 v47, s9, v50
	v_lshlrev_b32_e32 v49, 3, v1
	v_lshlrev_b32_e32 v50, 3, v10
	;; [unrolled: 1-line block ×4, first 2 shown]
	ds_read_b64 v[0:1], v48
	ds_read_b64 v[10:11], v49
	;; [unrolled: 1-line block ×4, first 2 shown]
	v_xor_b32_e32 v19, 0x7fffffff, v19
	s_waitcnt lgkmcnt(3)
	v_lshlrev_b64 v[0:1], 3, v[0:1]
	v_add_co_u32_e32 v0, vcc, s58, v0
	s_waitcnt lgkmcnt(2)
	v_lshlrev_b64 v[10:11], 3, v[10:11]
	v_addc_co_u32_e32 v1, vcc, v9, v1, vcc
	v_add_co_u32_e32 v9, vcc, s58, v10
	s_waitcnt lgkmcnt(1)
	v_lshlrev_b64 v[16:17], 3, v[16:17]
	v_addc_co_u32_e32 v11, vcc, v13, v11, vcc
	;; [unrolled: 4-line block ×3, first 2 shown]
	v_add_co_u32_e32 v26, vcc, s58, v26
	v_addc_co_u32_e32 v27, vcc, v52, v27, vcc
	v_add_co_u32_e32 v0, vcc, v0, v8
	v_addc_co_u32_e32 v1, vcc, 0, v1, vcc
	;; [unrolled: 2-line block ×4, first 2 shown]
	v_add_co_u32_e32 v26, vcc, v26, v5
	v_xor_b32_e32 v18, -1, v18
	v_xor_b32_e32 v21, 0x7fffffff, v21
	v_xor_b32_e32 v20, -1, v20
	v_addc_co_u32_e32 v27, vcc, 0, v27, vcc
	global_store_dwordx2 v[0:1], v[6:7], off
	global_store_dwordx2 v[10:11], v[14:15], off offset:2048
	global_store_dwordx2 v[16:17], v[18:19], off
	global_store_dwordx2 v[26:27], v[20:21], off
	v_lshrrev_b64 v[0:1], s68, v[44:45]
	v_and_b32_e32 v5, s9, v0
	ds_read_b64 v[0:1], v54
	v_lshlrev_b32_e32 v46, 3, v46
	v_lshlrev_b32_e32 v9, 3, v47
	;; [unrolled: 1-line block ×3, first 2 shown]
	ds_read_b64 v[6:7], v46
	ds_read_b64 v[10:11], v9
	;; [unrolled: 1-line block ×3, first 2 shown]
	s_waitcnt lgkmcnt(3)
	v_lshlrev_b64 v[0:1], 3, v[0:1]
	v_mov_b32_e32 v5, s59
	v_add_co_u32_e32 v0, vcc, s58, v0
	v_addc_co_u32_e32 v1, vcc, v5, v1, vcc
	v_or_b32_e32 v5, 0x2000, v8
	v_add_co_u32_e32 v0, vcc, v0, v5
	v_addc_co_u32_e32 v1, vcc, 0, v1, vcc
	s_waitcnt lgkmcnt(2)
	v_lshlrev_b64 v[6:7], 3, v[6:7]
	v_mov_b32_e32 v5, s59
	v_add_co_u32_e32 v6, vcc, s58, v6
	v_addc_co_u32_e32 v5, vcc, v5, v7, vcc
	v_add_u32_e32 v7, 0x2800, v8
	v_xor_b32_e32 v23, 0x7fffffff, v23
	v_xor_b32_e32 v22, -1, v22
	v_add_co_u32_e32 v6, vcc, v6, v7
	global_store_dwordx2 v[0:1], v[22:23], off
	v_xor_b32_e32 v1, 0x7fffffff, v25
	v_xor_b32_e32 v0, -1, v24
	v_addc_co_u32_e32 v7, vcc, 0, v5, vcc
	global_store_dwordx2 v[6:7], v[0:1], off
	s_waitcnt lgkmcnt(1)
	v_lshlrev_b64 v[6:7], 3, v[10:11]
	v_mov_b32_e32 v5, s59
	v_add_co_u32_e32 v6, vcc, s58, v6
	v_addc_co_u32_e32 v5, vcc, v5, v7, vcc
	v_add_u32_e32 v7, 0x3000, v8
	v_add_co_u32_e32 v6, vcc, v6, v7
	v_xor_b32_e32 v1, 0x7fffffff, v43
	v_xor_b32_e32 v0, -1, v42
	v_addc_co_u32_e32 v7, vcc, 0, v5, vcc
	global_store_dwordx2 v[6:7], v[0:1], off
	s_waitcnt lgkmcnt(0)
	v_lshlrev_b64 v[6:7], 3, v[14:15]
	ds_read2st64_b64 v[14:17], v8 offset0:36 offset1:40
	v_mov_b32_e32 v5, s59
	v_add_co_u32_e32 v6, vcc, s58, v6
	v_addc_co_u32_e32 v5, vcc, v5, v7, vcc
	v_add_u32_e32 v7, 0x3800, v8
	ds_read2st64_b64 v[18:21], v8 offset0:44 offset1:48
	v_add_co_u32_e32 v6, vcc, v6, v7
	v_xor_b32_e32 v1, 0x7fffffff, v45
	v_xor_b32_e32 v0, -1, v44
	v_addc_co_u32_e32 v7, vcc, 0, v5, vcc
	global_store_dwordx2 v[6:7], v[0:1], off
	s_waitcnt lgkmcnt(1)
	v_lshrrev_b64 v[0:1], s68, v[14:15]
	v_and_b32_e32 v5, s9, v0
	v_lshrrev_b64 v[6:7], s68, v[16:17]
	v_lshlrev_b32_e32 v24, 3, v5
	v_and_b32_e32 v5, s9, v6
	s_waitcnt lgkmcnt(0)
	v_lshrrev_b64 v[6:7], s68, v[18:19]
	v_lshlrev_b32_e32 v25, 3, v5
	v_and_b32_e32 v5, s9, v6
	v_lshrrev_b64 v[6:7], s68, v[20:21]
	v_lshlrev_b32_e32 v26, 3, v5
	v_and_b32_e32 v5, s9, v6
	ds_read_b64 v[6:7], v24
	v_lshlrev_b32_e32 v27, 3, v5
	v_mov_b32_e32 v5, s59
	v_xor_b32_e32 v1, 0x7fffffff, v15
	v_xor_b32_e32 v0, -1, v14
	s_waitcnt lgkmcnt(0)
	v_lshlrev_b64 v[6:7], 3, v[6:7]
	v_add_co_u32_e32 v6, vcc, s58, v6
	ds_read_b64 v[10:11], v25
	ds_read_b64 v[14:15], v26
	;; [unrolled: 1-line block ×3, first 2 shown]
	v_addc_co_u32_e32 v5, vcc, v5, v7, vcc
	v_or_b32_e32 v7, 0x4000, v8
	v_add_co_u32_e32 v6, vcc, v6, v7
	v_addc_co_u32_e32 v7, vcc, 0, v5, vcc
	global_store_dwordx2 v[6:7], v[0:1], off
	s_waitcnt lgkmcnt(2)
	v_lshlrev_b64 v[6:7], 3, v[10:11]
	v_mov_b32_e32 v5, s59
	v_add_co_u32_e32 v6, vcc, s58, v6
	v_addc_co_u32_e32 v5, vcc, v5, v7, vcc
	v_add_u32_e32 v7, 0x4800, v8
	v_add_co_u32_e32 v6, vcc, v6, v7
	v_xor_b32_e32 v1, 0x7fffffff, v17
	v_xor_b32_e32 v0, -1, v16
	v_addc_co_u32_e32 v7, vcc, 0, v5, vcc
	global_store_dwordx2 v[6:7], v[0:1], off
	s_waitcnt lgkmcnt(1)
	v_lshlrev_b64 v[6:7], 3, v[14:15]
	v_mov_b32_e32 v5, s59
	v_add_co_u32_e32 v6, vcc, s58, v6
	v_addc_co_u32_e32 v5, vcc, v5, v7, vcc
	v_add_u32_e32 v7, 0x5000, v8
	v_add_co_u32_e32 v6, vcc, v6, v7
	v_xor_b32_e32 v1, 0x7fffffff, v19
	v_xor_b32_e32 v0, -1, v18
	;; [unrolled: 11-line block ×3, first 2 shown]
	v_addc_co_u32_e32 v7, vcc, 0, v5, vcc
	global_store_dwordx2 v[6:7], v[0:1], off
	v_mov_b32_e32 v0, s1
	v_add_co_u32_e32 v1, vcc, s0, v3
	v_addc_co_u32_e32 v3, vcc, 0, v0, vcc
	v_add_co_u32_e32 v0, vcc, v1, v30
	v_addc_co_u32_e32 v1, vcc, 0, v3, vcc
	global_load_ubyte v6, v[0:1], off
	global_load_ubyte v7, v[0:1], off offset:64
	global_load_ubyte v10, v[0:1], off offset:128
	;; [unrolled: 1-line block ×11, first 2 shown]
	s_barrier
	s_waitcnt vmcnt(11)
	ds_write_b8 v28, v6 offset:2048
	s_waitcnt vmcnt(10)
	ds_write_b8 v29, v7 offset:2048
	;; [unrolled: 2-line block ×12, first 2 shown]
	s_waitcnt lgkmcnt(0)
	s_barrier
	ds_read_b64 v[0:1], v48
	ds_read_b64 v[6:7], v49
	;; [unrolled: 1-line block ×4, first 2 shown]
	v_mov_b32_e32 v16, s63
	s_waitcnt lgkmcnt(3)
	v_add_co_u32_e32 v0, vcc, s62, v0
	v_addc_co_u32_e32 v1, vcc, v16, v1, vcc
	v_add_co_u32_e32 v0, vcc, v0, v2
	v_addc_co_u32_e32 v1, vcc, 0, v1, vcc
	ds_read_u8 v16, v2 offset:2048
	ds_read_u8 v17, v2 offset:2304
	;; [unrolled: 1-line block ×8, first 2 shown]
	s_waitcnt lgkmcnt(7)
	global_store_byte v[0:1], v16, off
	v_mov_b32_e32 v0, s63
	v_add_co_u32_e32 v1, vcc, s62, v6
	v_addc_co_u32_e32 v6, vcc, v0, v7, vcc
	v_add_co_u32_e32 v0, vcc, v1, v2
	v_addc_co_u32_e32 v1, vcc, 0, v6, vcc
	s_waitcnt lgkmcnt(6)
	global_store_byte v[0:1], v17, off offset:256
	v_mov_b32_e32 v0, s63
	v_add_co_u32_e32 v1, vcc, s62, v10
	v_addc_co_u32_e32 v6, vcc, v0, v11, vcc
	v_add_co_u32_e32 v0, vcc, v1, v2
	v_addc_co_u32_e32 v1, vcc, 0, v6, vcc
	s_waitcnt lgkmcnt(5)
	global_store_byte v[0:1], v18, off offset:512
	;; [unrolled: 7-line block ×3, first 2 shown]
	ds_read_b64 v[0:1], v54
	ds_read_b64 v[6:7], v46
	;; [unrolled: 1-line block ×4, first 2 shown]
	v_mov_b32_e32 v16, s63
	s_waitcnt lgkmcnt(3)
	v_add_co_u32_e32 v0, vcc, s62, v0
	v_addc_co_u32_e32 v1, vcc, v16, v1, vcc
	v_add_co_u32_e32 v0, vcc, v0, v2
	v_addc_co_u32_e32 v1, vcc, 0, v1, vcc
	global_store_byte v[0:1], v20, off offset:1024
	v_mov_b32_e32 v0, s63
	s_waitcnt lgkmcnt(2)
	v_add_co_u32_e32 v1, vcc, s62, v6
	v_addc_co_u32_e32 v6, vcc, v0, v7, vcc
	v_add_co_u32_e32 v0, vcc, v1, v2
	v_addc_co_u32_e32 v1, vcc, 0, v6, vcc
	global_store_byte v[0:1], v21, off offset:1280
	v_mov_b32_e32 v0, s63
	s_waitcnt lgkmcnt(1)
	v_add_co_u32_e32 v1, vcc, s62, v10
	v_addc_co_u32_e32 v6, vcc, v0, v11, vcc
	v_add_co_u32_e32 v0, vcc, v1, v2
	v_addc_co_u32_e32 v1, vcc, 0, v6, vcc
	global_store_byte v[0:1], v22, off offset:1536
	v_mov_b32_e32 v0, s63
	s_waitcnt lgkmcnt(0)
	v_add_co_u32_e32 v1, vcc, s62, v14
	v_addc_co_u32_e32 v6, vcc, v0, v15, vcc
	v_add_co_u32_e32 v0, vcc, v1, v2
	v_addc_co_u32_e32 v1, vcc, 0, v6, vcc
	global_store_byte v[0:1], v23, off offset:1792
	ds_read_u8 v9, v2 offset:4096
	ds_read_b64 v[0:1], v24
	ds_read_b64 v[6:7], v25
	;; [unrolled: 1-line block ×4, first 2 shown]
	v_mov_b32_e32 v13, s63
	s_waitcnt lgkmcnt(3)
	v_add_co_u32_e32 v0, vcc, s62, v0
	v_addc_co_u32_e32 v1, vcc, v13, v1, vcc
	v_add_co_u32_e32 v0, vcc, v0, v2
	v_addc_co_u32_e32 v1, vcc, 0, v1, vcc
	ds_read_u8 v13, v2 offset:4352
	ds_read_u8 v16, v2 offset:4608
	;; [unrolled: 1-line block ×3, first 2 shown]
	global_store_byte v[0:1], v9, off offset:2048
	v_mov_b32_e32 v0, s63
	s_waitcnt lgkmcnt(5)
	v_add_co_u32_e32 v1, vcc, s62, v6
	v_addc_co_u32_e32 v6, vcc, v0, v7, vcc
	v_add_co_u32_e32 v0, vcc, v1, v2
	v_addc_co_u32_e32 v1, vcc, 0, v6, vcc
	s_waitcnt lgkmcnt(2)
	global_store_byte v[0:1], v13, off offset:2304
	v_mov_b32_e32 v0, s63
	v_add_co_u32_e32 v1, vcc, s62, v10
	v_addc_co_u32_e32 v6, vcc, v0, v11, vcc
	v_add_co_u32_e32 v0, vcc, v1, v2
	v_addc_co_u32_e32 v1, vcc, 0, v6, vcc
	s_waitcnt lgkmcnt(1)
	global_store_byte v[0:1], v16, off offset:2560
	v_mov_b32_e32 v0, s63
	v_add_co_u32_e32 v1, vcc, s62, v14
	v_addc_co_u32_e32 v6, vcc, v0, v15, vcc
	v_mov_b32_e32 v3, 0
	v_add_co_u32_e32 v0, vcc, v1, v2
	v_mov_b32_e32 v5, v3
	v_addc_co_u32_e32 v1, vcc, 0, v6, vcc
	s_cselect_b64 s[0:1], -1, 0
	s_waitcnt lgkmcnt(0)
	global_store_byte v[0:1], v17, off offset:2816
.LBB14_171:
	s_and_b64 vcc, exec, s[0:1]
	s_cbranch_vccnz .LBB14_173
; %bb.172:
	s_endpgm
.LBB14_173:
	v_lshlrev_b64 v[0:1], 3, v[2:3]
	ds_read_b64 v[2:3], v8
	v_add_co_u32_e32 v4, vcc, v4, v12
	v_addc_co_u32_e32 v5, vcc, 0, v5, vcc
	v_mov_b32_e32 v6, s67
	v_add_co_u32_e32 v0, vcc, s66, v0
	v_addc_co_u32_e32 v1, vcc, v6, v1, vcc
	s_waitcnt lgkmcnt(0)
	v_add_co_u32_e32 v2, vcc, v4, v2
	v_addc_co_u32_e32 v3, vcc, v5, v3, vcc
	global_store_dwordx2 v[0:1], v[2:3], off
	s_endpgm
.LBB14_174:
	global_load_ubyte v9, v[6:7], off
	s_or_b64 exec, exec, s[0:1]
                                        ; implicit-def: $vgpr10
	s_and_saveexec_b64 s[0:1], s[2:3]
	s_cbranch_execz .LBB14_91
.LBB14_175:
	global_load_ubyte v10, v[6:7], off offset:64
	s_or_b64 exec, exec, s[0:1]
                                        ; implicit-def: $vgpr11
	s_and_saveexec_b64 s[0:1], s[50:51]
	s_cbranch_execz .LBB14_92
.LBB14_176:
	global_load_ubyte v11, v[6:7], off offset:128
	s_or_b64 exec, exec, s[0:1]
                                        ; implicit-def: $vgpr13
	s_and_saveexec_b64 s[0:1], s[8:9]
	s_cbranch_execz .LBB14_93
.LBB14_177:
	global_load_ubyte v13, v[6:7], off offset:192
	s_or_b64 exec, exec, s[0:1]
                                        ; implicit-def: $vgpr14
	s_and_saveexec_b64 s[0:1], s[10:11]
	s_cbranch_execz .LBB14_94
.LBB14_178:
	global_load_ubyte v14, v[6:7], off offset:256
	s_or_b64 exec, exec, s[0:1]
                                        ; implicit-def: $vgpr15
	s_and_saveexec_b64 s[0:1], s[12:13]
	s_cbranch_execz .LBB14_95
.LBB14_179:
	global_load_ubyte v15, v[6:7], off offset:320
	s_or_b64 exec, exec, s[0:1]
                                        ; implicit-def: $vgpr16
	s_and_saveexec_b64 s[0:1], s[14:15]
	s_cbranch_execz .LBB14_96
.LBB14_180:
	global_load_ubyte v16, v[6:7], off offset:384
	s_or_b64 exec, exec, s[0:1]
                                        ; implicit-def: $vgpr19
	s_and_saveexec_b64 s[0:1], s[16:17]
	s_cbranch_execz .LBB14_97
.LBB14_181:
	global_load_ubyte v19, v[6:7], off offset:448
	s_or_b64 exec, exec, s[0:1]
                                        ; implicit-def: $vgpr21
	s_and_saveexec_b64 s[0:1], s[18:19]
	s_cbranch_execz .LBB14_98
.LBB14_182:
	global_load_ubyte v21, v[6:7], off offset:512
	s_or_b64 exec, exec, s[0:1]
                                        ; implicit-def: $vgpr24
	s_and_saveexec_b64 s[0:1], s[20:21]
	s_cbranch_execz .LBB14_99
.LBB14_183:
	global_load_ubyte v24, v[6:7], off offset:576
	s_or_b64 exec, exec, s[0:1]
                                        ; implicit-def: $vgpr27
	s_and_saveexec_b64 s[0:1], s[22:23]
	s_cbranch_execz .LBB14_100
.LBB14_184:
	global_load_ubyte v27, v[6:7], off offset:640
	s_or_b64 exec, exec, s[0:1]
                                        ; implicit-def: $vgpr32
	s_and_saveexec_b64 s[0:1], s[24:25]
	s_cbranch_execz .LBB14_101
.LBB14_185:
	global_load_ubyte v32, v[6:7], off offset:704
	s_or_b64 exec, exec, s[0:1]
                                        ; implicit-def: $vgpr33
	s_and_saveexec_b64 s[0:1], vcc
	s_cbranch_execz .LBB14_102
.LBB14_186:
	ds_read_b64 v[6:7], v8 offset:2048
	s_waitcnt lgkmcnt(0)
	v_lshrrev_b64 v[6:7], s68, v[6:7]
	v_and_b32_e32 v33, s55, v6
	s_or_b64 exec, exec, s[0:1]
                                        ; implicit-def: $vgpr29
	s_and_saveexec_b64 s[0:1], s[26:27]
	s_cbranch_execz .LBB14_103
.LBB14_187:
	v_lshlrev_b32_e32 v6, 3, v2
	ds_read_b64 v[6:7], v6 offset:4096
	s_waitcnt lgkmcnt(0)
	v_lshrrev_b64 v[6:7], s68, v[6:7]
	v_and_b32_e32 v29, s55, v6
	s_or_b64 exec, exec, s[0:1]
                                        ; implicit-def: $vgpr28
	s_and_saveexec_b64 s[0:1], s[28:29]
	s_cbranch_execz .LBB14_104
.LBB14_188:
	v_lshlrev_b32_e32 v6, 3, v2
	ds_read_b64 v[6:7], v6 offset:6144
	s_waitcnt lgkmcnt(0)
	v_lshrrev_b64 v[6:7], s68, v[6:7]
	v_and_b32_e32 v28, s55, v6
	s_or_b64 exec, exec, s[0:1]
                                        ; implicit-def: $vgpr26
	s_and_saveexec_b64 s[0:1], s[30:31]
	s_cbranch_execz .LBB14_105
.LBB14_189:
	v_lshlrev_b32_e32 v6, 3, v2
	ds_read_b64 v[6:7], v6 offset:8192
	s_waitcnt lgkmcnt(0)
	v_lshrrev_b64 v[6:7], s68, v[6:7]
	v_and_b32_e32 v26, s55, v6
	s_or_b64 exec, exec, s[0:1]
                                        ; implicit-def: $vgpr25
	s_and_saveexec_b64 s[0:1], s[34:35]
	s_cbranch_execz .LBB14_106
.LBB14_190:
	v_lshlrev_b32_e32 v6, 3, v2
	ds_read_b64 v[6:7], v6 offset:10240
	s_waitcnt lgkmcnt(0)
	v_lshrrev_b64 v[6:7], s68, v[6:7]
	v_and_b32_e32 v25, s55, v6
	s_or_b64 exec, exec, s[0:1]
                                        ; implicit-def: $vgpr23
	s_and_saveexec_b64 s[0:1], s[36:37]
	s_cbranch_execz .LBB14_107
.LBB14_191:
	v_lshlrev_b32_e32 v6, 3, v2
	ds_read_b64 v[6:7], v6 offset:12288
	s_waitcnt lgkmcnt(0)
	v_lshrrev_b64 v[6:7], s68, v[6:7]
	v_and_b32_e32 v23, s55, v6
	s_or_b64 exec, exec, s[0:1]
                                        ; implicit-def: $vgpr22
	s_and_saveexec_b64 s[0:1], s[38:39]
	s_cbranch_execz .LBB14_108
.LBB14_192:
	v_lshlrev_b32_e32 v6, 3, v2
	ds_read_b64 v[6:7], v6 offset:14336
	s_waitcnt lgkmcnt(0)
	v_lshrrev_b64 v[6:7], s68, v[6:7]
	v_and_b32_e32 v22, s55, v6
	s_or_b64 exec, exec, s[0:1]
                                        ; implicit-def: $vgpr20
	s_and_saveexec_b64 s[0:1], s[40:41]
	s_cbranch_execz .LBB14_109
.LBB14_193:
	v_lshlrev_b32_e32 v6, 3, v2
	ds_read_b64 v[6:7], v6 offset:16384
	s_waitcnt lgkmcnt(0)
	v_lshrrev_b64 v[6:7], s68, v[6:7]
	v_and_b32_e32 v20, s55, v6
	s_or_b64 exec, exec, s[0:1]
                                        ; implicit-def: $vgpr18
	s_and_saveexec_b64 s[0:1], s[42:43]
	s_cbranch_execnz .LBB14_110
	s_branch .LBB14_111
.LBB14_194:
	v_lshlrev_b32_e32 v7, 3, v2
	ds_read_b64 v[44:45], v7 offset:20480
	s_waitcnt lgkmcnt(0)
	v_lshrrev_b64 v[44:45], s68, v[44:45]
	v_and_b32_e32 v17, s55, v44
	s_or_b64 exec, exec, s[0:1]
	s_and_saveexec_b64 s[0:1], s[46:47]
	s_cbranch_execz .LBB14_113
.LBB14_195:
	v_lshlrev_b32_e32 v6, 3, v2
	ds_read_b64 v[6:7], v6 offset:22528
	s_waitcnt lgkmcnt(0)
	v_lshrrev_b64 v[6:7], s68, v[6:7]
	v_and_b32_e32 v6, s55, v6
	s_or_b64 exec, exec, s[0:1]
	v_mov_b32_e32 v7, 0
	s_and_saveexec_b64 s[0:1], s[48:49]
	s_cbranch_execnz .LBB14_114
	s_branch .LBB14_115
.LBB14_196:
	v_lshlrev_b32_e32 v9, 3, v33
	ds_read_b64 v[10:11], v9
	ds_read_u8 v9, v2 offset:2048
	v_mov_b32_e32 v13, s63
	s_waitcnt lgkmcnt(1)
	v_add_co_u32_e32 v10, vcc, s62, v10
	v_addc_co_u32_e32 v11, vcc, v13, v11, vcc
	v_add_co_u32_e32 v10, vcc, v10, v2
	v_addc_co_u32_e32 v11, vcc, 0, v11, vcc
	s_waitcnt lgkmcnt(0)
	global_store_byte v[10:11], v9, off
	s_or_b64 exec, exec, s[0:1]
	s_and_saveexec_b64 s[0:1], s[26:27]
	s_cbranch_execz .LBB14_117
.LBB14_197:
	v_lshlrev_b32_e32 v9, 3, v29
	ds_read_b64 v[10:11], v9
	ds_read_u8 v9, v2 offset:2304
	v_mov_b32_e32 v13, s63
	s_waitcnt lgkmcnt(1)
	v_add_co_u32_e32 v10, vcc, s62, v10
	v_addc_co_u32_e32 v11, vcc, v13, v11, vcc
	v_add_co_u32_e32 v10, vcc, v10, v2
	v_addc_co_u32_e32 v11, vcc, 0, v11, vcc
	s_waitcnt lgkmcnt(0)
	global_store_byte v[10:11], v9, off offset:256
	s_or_b64 exec, exec, s[0:1]
	s_and_saveexec_b64 s[0:1], s[28:29]
	s_cbranch_execz .LBB14_118
.LBB14_198:
	v_lshlrev_b32_e32 v9, 3, v28
	ds_read_b64 v[10:11], v9
	ds_read_u8 v9, v2 offset:2560
	v_mov_b32_e32 v13, s63
	s_waitcnt lgkmcnt(1)
	v_add_co_u32_e32 v10, vcc, s62, v10
	v_addc_co_u32_e32 v11, vcc, v13, v11, vcc
	v_add_co_u32_e32 v10, vcc, v10, v2
	v_addc_co_u32_e32 v11, vcc, 0, v11, vcc
	s_waitcnt lgkmcnt(0)
	global_store_byte v[10:11], v9, off offset:512
	s_or_b64 exec, exec, s[0:1]
	s_and_saveexec_b64 s[0:1], s[30:31]
	s_cbranch_execz .LBB14_119
.LBB14_199:
	v_lshlrev_b32_e32 v9, 3, v26
	ds_read_b64 v[10:11], v9
	ds_read_u8 v9, v2 offset:2816
	v_mov_b32_e32 v13, s63
	s_waitcnt lgkmcnt(1)
	v_add_co_u32_e32 v10, vcc, s62, v10
	v_addc_co_u32_e32 v11, vcc, v13, v11, vcc
	v_add_co_u32_e32 v10, vcc, v10, v2
	v_addc_co_u32_e32 v11, vcc, 0, v11, vcc
	s_waitcnt lgkmcnt(0)
	global_store_byte v[10:11], v9, off offset:768
	s_or_b64 exec, exec, s[0:1]
	s_and_saveexec_b64 s[0:1], s[34:35]
	s_cbranch_execz .LBB14_120
.LBB14_200:
	v_lshlrev_b32_e32 v9, 3, v25
	ds_read_b64 v[10:11], v9
	ds_read_u8 v9, v2 offset:3072
	v_mov_b32_e32 v13, s63
	s_waitcnt lgkmcnt(1)
	v_add_co_u32_e32 v10, vcc, s62, v10
	v_addc_co_u32_e32 v11, vcc, v13, v11, vcc
	v_add_co_u32_e32 v10, vcc, v10, v2
	v_addc_co_u32_e32 v11, vcc, 0, v11, vcc
	s_waitcnt lgkmcnt(0)
	global_store_byte v[10:11], v9, off offset:1024
	s_or_b64 exec, exec, s[0:1]
	s_and_saveexec_b64 s[0:1], s[36:37]
	s_cbranch_execz .LBB14_121
.LBB14_201:
	v_lshlrev_b32_e32 v9, 3, v23
	ds_read_b64 v[10:11], v9
	ds_read_u8 v9, v2 offset:3328
	v_mov_b32_e32 v13, s63
	s_waitcnt lgkmcnt(1)
	v_add_co_u32_e32 v10, vcc, s62, v10
	v_addc_co_u32_e32 v11, vcc, v13, v11, vcc
	v_add_co_u32_e32 v10, vcc, v10, v2
	v_addc_co_u32_e32 v11, vcc, 0, v11, vcc
	s_waitcnt lgkmcnt(0)
	global_store_byte v[10:11], v9, off offset:1280
	s_or_b64 exec, exec, s[0:1]
	s_and_saveexec_b64 s[0:1], s[38:39]
	s_cbranch_execz .LBB14_122
.LBB14_202:
	v_lshlrev_b32_e32 v9, 3, v22
	ds_read_b64 v[10:11], v9
	ds_read_u8 v9, v2 offset:3584
	v_mov_b32_e32 v13, s63
	s_waitcnt lgkmcnt(1)
	v_add_co_u32_e32 v10, vcc, s62, v10
	v_addc_co_u32_e32 v11, vcc, v13, v11, vcc
	v_add_co_u32_e32 v10, vcc, v10, v2
	v_addc_co_u32_e32 v11, vcc, 0, v11, vcc
	s_waitcnt lgkmcnt(0)
	global_store_byte v[10:11], v9, off offset:1536
	s_or_b64 exec, exec, s[0:1]
	s_and_saveexec_b64 s[0:1], s[40:41]
	s_cbranch_execz .LBB14_123
.LBB14_203:
	v_lshlrev_b32_e32 v9, 3, v20
	ds_read_b64 v[10:11], v9
	ds_read_u8 v9, v2 offset:3840
	v_mov_b32_e32 v13, s63
	s_waitcnt lgkmcnt(1)
	v_add_co_u32_e32 v10, vcc, s62, v10
	v_addc_co_u32_e32 v11, vcc, v13, v11, vcc
	v_add_co_u32_e32 v10, vcc, v10, v2
	v_addc_co_u32_e32 v11, vcc, 0, v11, vcc
	s_waitcnt lgkmcnt(0)
	global_store_byte v[10:11], v9, off offset:1792
	s_or_b64 exec, exec, s[0:1]
	s_and_saveexec_b64 s[0:1], s[42:43]
	s_cbranch_execz .LBB14_124
.LBB14_204:
	v_lshlrev_b32_e32 v9, 3, v18
	ds_read_b64 v[10:11], v9
	ds_read_u8 v9, v2 offset:4096
	v_mov_b32_e32 v13, s63
	s_waitcnt lgkmcnt(1)
	v_add_co_u32_e32 v10, vcc, s62, v10
	v_addc_co_u32_e32 v11, vcc, v13, v11, vcc
	v_add_co_u32_e32 v10, vcc, v10, v2
	v_addc_co_u32_e32 v11, vcc, 0, v11, vcc
	s_waitcnt lgkmcnt(0)
	global_store_byte v[10:11], v9, off offset:2048
	s_or_b64 exec, exec, s[0:1]
	s_and_saveexec_b64 s[0:1], s[44:45]
	s_cbranch_execz .LBB14_125
.LBB14_205:
	v_lshlrev_b32_e32 v9, 3, v17
	ds_read_b64 v[10:11], v9
	ds_read_u8 v9, v2 offset:4352
	v_mov_b32_e32 v13, s63
	s_waitcnt lgkmcnt(1)
	v_add_co_u32_e32 v10, vcc, s62, v10
	v_addc_co_u32_e32 v11, vcc, v13, v11, vcc
	v_add_co_u32_e32 v10, vcc, v10, v2
	v_addc_co_u32_e32 v11, vcc, 0, v11, vcc
	s_waitcnt lgkmcnt(0)
	global_store_byte v[10:11], v9, off offset:2304
	s_or_b64 exec, exec, s[0:1]
	s_and_saveexec_b64 s[0:1], s[46:47]
	s_cbranch_execz .LBB14_126
.LBB14_206:
	v_lshlrev_b32_e32 v6, 3, v6
	ds_read_b64 v[10:11], v6
	ds_read_u8 v6, v2 offset:4608
	v_mov_b32_e32 v9, s63
	s_waitcnt lgkmcnt(1)
	v_add_co_u32_e32 v10, vcc, s62, v10
	v_addc_co_u32_e32 v9, vcc, v9, v11, vcc
	v_add_co_u32_e32 v10, vcc, v10, v2
	v_addc_co_u32_e32 v11, vcc, 0, v9, vcc
	s_waitcnt lgkmcnt(0)
	global_store_byte v[10:11], v6, off offset:2560
	s_or_b64 exec, exec, s[0:1]
	s_and_saveexec_b64 s[0:1], s[48:49]
	s_cbranch_execnz .LBB14_127
	s_branch .LBB14_128
	.section	.rodata,"a",@progbits
	.p2align	6, 0x0
	.amdhsa_kernel _ZN7rocprim17ROCPRIM_304000_NS6detail25onesweep_iteration_kernelINS1_34wrapped_radix_sort_onesweep_configINS0_14default_configElN2at4cuda3cub6detail10OpaqueTypeILi1EEEEELb1EPKlPlPKSA_PSA_mNS0_19identity_decomposerEEEvT1_T2_T3_T4_jPT5_SO_PNS1_23onesweep_lookback_stateET6_jjj
		.amdhsa_group_segment_fixed_size 26624
		.amdhsa_private_segment_fixed_size 0
		.amdhsa_kernarg_size 336
		.amdhsa_user_sgpr_count 6
		.amdhsa_user_sgpr_private_segment_buffer 1
		.amdhsa_user_sgpr_dispatch_ptr 0
		.amdhsa_user_sgpr_queue_ptr 0
		.amdhsa_user_sgpr_kernarg_segment_ptr 1
		.amdhsa_user_sgpr_dispatch_id 0
		.amdhsa_user_sgpr_flat_scratch_init 0
		.amdhsa_user_sgpr_kernarg_preload_length 0
		.amdhsa_user_sgpr_kernarg_preload_offset 0
		.amdhsa_user_sgpr_private_segment_size 0
		.amdhsa_uses_dynamic_stack 0
		.amdhsa_system_sgpr_private_segment_wavefront_offset 0
		.amdhsa_system_sgpr_workgroup_id_x 1
		.amdhsa_system_sgpr_workgroup_id_y 0
		.amdhsa_system_sgpr_workgroup_id_z 0
		.amdhsa_system_sgpr_workgroup_info 0
		.amdhsa_system_vgpr_workitem_id 2
		.amdhsa_next_free_vgpr 76
		.amdhsa_next_free_sgpr 74
		.amdhsa_accum_offset 76
		.amdhsa_reserve_vcc 1
		.amdhsa_reserve_flat_scratch 0
		.amdhsa_float_round_mode_32 0
		.amdhsa_float_round_mode_16_64 0
		.amdhsa_float_denorm_mode_32 3
		.amdhsa_float_denorm_mode_16_64 3
		.amdhsa_dx10_clamp 1
		.amdhsa_ieee_mode 1
		.amdhsa_fp16_overflow 0
		.amdhsa_tg_split 0
		.amdhsa_exception_fp_ieee_invalid_op 0
		.amdhsa_exception_fp_denorm_src 0
		.amdhsa_exception_fp_ieee_div_zero 0
		.amdhsa_exception_fp_ieee_overflow 0
		.amdhsa_exception_fp_ieee_underflow 0
		.amdhsa_exception_fp_ieee_inexact 0
		.amdhsa_exception_int_div_zero 0
	.end_amdhsa_kernel
	.section	.text._ZN7rocprim17ROCPRIM_304000_NS6detail25onesweep_iteration_kernelINS1_34wrapped_radix_sort_onesweep_configINS0_14default_configElN2at4cuda3cub6detail10OpaqueTypeILi1EEEEELb1EPKlPlPKSA_PSA_mNS0_19identity_decomposerEEEvT1_T2_T3_T4_jPT5_SO_PNS1_23onesweep_lookback_stateET6_jjj,"axG",@progbits,_ZN7rocprim17ROCPRIM_304000_NS6detail25onesweep_iteration_kernelINS1_34wrapped_radix_sort_onesweep_configINS0_14default_configElN2at4cuda3cub6detail10OpaqueTypeILi1EEEEELb1EPKlPlPKSA_PSA_mNS0_19identity_decomposerEEEvT1_T2_T3_T4_jPT5_SO_PNS1_23onesweep_lookback_stateET6_jjj,comdat
.Lfunc_end14:
	.size	_ZN7rocprim17ROCPRIM_304000_NS6detail25onesweep_iteration_kernelINS1_34wrapped_radix_sort_onesweep_configINS0_14default_configElN2at4cuda3cub6detail10OpaqueTypeILi1EEEEELb1EPKlPlPKSA_PSA_mNS0_19identity_decomposerEEEvT1_T2_T3_T4_jPT5_SO_PNS1_23onesweep_lookback_stateET6_jjj, .Lfunc_end14-_ZN7rocprim17ROCPRIM_304000_NS6detail25onesweep_iteration_kernelINS1_34wrapped_radix_sort_onesweep_configINS0_14default_configElN2at4cuda3cub6detail10OpaqueTypeILi1EEEEELb1EPKlPlPKSA_PSA_mNS0_19identity_decomposerEEEvT1_T2_T3_T4_jPT5_SO_PNS1_23onesweep_lookback_stateET6_jjj
                                        ; -- End function
	.section	.AMDGPU.csdata,"",@progbits
; Kernel info:
; codeLenInByte = 18796
; NumSgprs: 78
; NumVgprs: 76
; NumAgprs: 0
; TotalNumVgprs: 76
; ScratchSize: 0
; MemoryBound: 0
; FloatMode: 240
; IeeeMode: 1
; LDSByteSize: 26624 bytes/workgroup (compile time only)
; SGPRBlocks: 9
; VGPRBlocks: 9
; NumSGPRsForWavesPerEU: 78
; NumVGPRsForWavesPerEU: 76
; AccumOffset: 76
; Occupancy: 2
; WaveLimiterHint : 1
; COMPUTE_PGM_RSRC2:SCRATCH_EN: 0
; COMPUTE_PGM_RSRC2:USER_SGPR: 6
; COMPUTE_PGM_RSRC2:TRAP_HANDLER: 0
; COMPUTE_PGM_RSRC2:TGID_X_EN: 1
; COMPUTE_PGM_RSRC2:TGID_Y_EN: 0
; COMPUTE_PGM_RSRC2:TGID_Z_EN: 0
; COMPUTE_PGM_RSRC2:TIDIG_COMP_CNT: 2
; COMPUTE_PGM_RSRC3_GFX90A:ACCUM_OFFSET: 18
; COMPUTE_PGM_RSRC3_GFX90A:TG_SPLIT: 0
	.section	.text._ZN7rocprim17ROCPRIM_304000_NS6detail25onesweep_iteration_kernelINS1_34wrapped_radix_sort_onesweep_configINS0_14default_configElN2at4cuda3cub6detail10OpaqueTypeILi1EEEEELb1EPlSC_PSA_SD_mNS0_19identity_decomposerEEEvT1_T2_T3_T4_jPT5_SK_PNS1_23onesweep_lookback_stateET6_jjj,"axG",@progbits,_ZN7rocprim17ROCPRIM_304000_NS6detail25onesweep_iteration_kernelINS1_34wrapped_radix_sort_onesweep_configINS0_14default_configElN2at4cuda3cub6detail10OpaqueTypeILi1EEEEELb1EPlSC_PSA_SD_mNS0_19identity_decomposerEEEvT1_T2_T3_T4_jPT5_SK_PNS1_23onesweep_lookback_stateET6_jjj,comdat
	.protected	_ZN7rocprim17ROCPRIM_304000_NS6detail25onesweep_iteration_kernelINS1_34wrapped_radix_sort_onesweep_configINS0_14default_configElN2at4cuda3cub6detail10OpaqueTypeILi1EEEEELb1EPlSC_PSA_SD_mNS0_19identity_decomposerEEEvT1_T2_T3_T4_jPT5_SK_PNS1_23onesweep_lookback_stateET6_jjj ; -- Begin function _ZN7rocprim17ROCPRIM_304000_NS6detail25onesweep_iteration_kernelINS1_34wrapped_radix_sort_onesweep_configINS0_14default_configElN2at4cuda3cub6detail10OpaqueTypeILi1EEEEELb1EPlSC_PSA_SD_mNS0_19identity_decomposerEEEvT1_T2_T3_T4_jPT5_SK_PNS1_23onesweep_lookback_stateET6_jjj
	.globl	_ZN7rocprim17ROCPRIM_304000_NS6detail25onesweep_iteration_kernelINS1_34wrapped_radix_sort_onesweep_configINS0_14default_configElN2at4cuda3cub6detail10OpaqueTypeILi1EEEEELb1EPlSC_PSA_SD_mNS0_19identity_decomposerEEEvT1_T2_T3_T4_jPT5_SK_PNS1_23onesweep_lookback_stateET6_jjj
	.p2align	8
	.type	_ZN7rocprim17ROCPRIM_304000_NS6detail25onesweep_iteration_kernelINS1_34wrapped_radix_sort_onesweep_configINS0_14default_configElN2at4cuda3cub6detail10OpaqueTypeILi1EEEEELb1EPlSC_PSA_SD_mNS0_19identity_decomposerEEEvT1_T2_T3_T4_jPT5_SK_PNS1_23onesweep_lookback_stateET6_jjj,@function
_ZN7rocprim17ROCPRIM_304000_NS6detail25onesweep_iteration_kernelINS1_34wrapped_radix_sort_onesweep_configINS0_14default_configElN2at4cuda3cub6detail10OpaqueTypeILi1EEEEELb1EPlSC_PSA_SD_mNS0_19identity_decomposerEEEvT1_T2_T3_T4_jPT5_SK_PNS1_23onesweep_lookback_stateET6_jjj: ; @_ZN7rocprim17ROCPRIM_304000_NS6detail25onesweep_iteration_kernelINS1_34wrapped_radix_sort_onesweep_configINS0_14default_configElN2at4cuda3cub6detail10OpaqueTypeILi1EEEEELb1EPlSC_PSA_SD_mNS0_19identity_decomposerEEEvT1_T2_T3_T4_jPT5_SK_PNS1_23onesweep_lookback_stateET6_jjj
; %bb.0:
	s_load_dwordx4 s[68:71], s[4:5], 0x44
	s_load_dwordx8 s[56:63], s[4:5], 0x0
	s_load_dwordx4 s[64:67], s[4:5], 0x28
	s_load_dwordx2 s[72:73], s[4:5], 0x38
	s_mov_b32 s7, s6
	s_waitcnt lgkmcnt(0)
	s_cmp_ge_u32 s6, s70
	s_mul_i32 s54, s6, 0xc00
	v_mbcnt_lo_u32_b32 v1, -1, 0
	s_cbranch_scc0 .LBB15_129
; %bb.1:
	s_load_dword s2, s[4:5], 0x20
	s_mulk_i32 s70, 0xf400
	s_mov_b32 s55, 0
	s_lshl_b64 s[0:1], s[54:55], 3
	v_and_b32_e32 v2, 0x3ff, v0
	s_waitcnt lgkmcnt(0)
	s_add_i32 s70, s70, s2
	s_add_u32 s0, s56, s0
	v_mbcnt_hi_u32_b32 v32, -1, v1
	s_addc_u32 s1, s57, s1
	v_and_b32_e32 v3, 0xc0, v2
	v_lshlrev_b32_e32 v4, 3, v32
	v_mul_u32_u24_e32 v33, 12, v3
	v_mov_b32_e32 v5, s1
	v_add_co_u32_e32 v4, vcc, s0, v4
	v_addc_co_u32_e32 v5, vcc, 0, v5, vcc
	v_lshlrev_b32_e32 v6, 3, v33
	v_add_co_u32_e32 v28, vcc, v4, v6
	v_or_b32_e32 v4, v32, v33
	s_brev_b32 s9, 1
	s_mov_b32 s8, s55
	v_addc_co_u32_e32 v29, vcc, 0, v5, vcc
	v_cmp_gt_u32_e64 s[0:1], s70, v4
	v_pk_mov_b32 v[6:7], s[8:9], s[8:9] op_sel:[0,1]
	s_and_saveexec_b64 s[2:3], s[0:1]
	s_cbranch_execz .LBB15_3
; %bb.2:
	global_load_dwordx2 v[6:7], v[28:29], off
.LBB15_3:
	s_or_b64 exec, exec, s[2:3]
	v_add_u32_e32 v5, 64, v4
	v_cmp_gt_u32_e64 s[2:3], s70, v5
	v_pk_mov_b32 v[8:9], s[8:9], s[8:9] op_sel:[0,1]
	s_and_saveexec_b64 s[8:9], s[2:3]
	s_cbranch_execz .LBB15_5
; %bb.4:
	global_load_dwordx2 v[8:9], v[28:29], off offset:512
.LBB15_5:
	s_or_b64 exec, exec, s[8:9]
	s_mov_b32 s10, 0
	v_add_u32_e32 v5, 0x80, v4
	s_brev_b32 s11, 1
	v_cmp_gt_u32_e64 s[50:51], s70, v5
	v_pk_mov_b32 v[10:11], s[10:11], s[10:11] op_sel:[0,1]
	s_and_saveexec_b64 s[8:9], s[50:51]
	s_cbranch_execz .LBB15_7
; %bb.6:
	global_load_dwordx2 v[10:11], v[28:29], off offset:1024
.LBB15_7:
	s_or_b64 exec, exec, s[8:9]
	v_add_u32_e32 v5, 0xc0, v4
	v_cmp_gt_u32_e64 s[8:9], s70, v5
	v_pk_mov_b32 v[14:15], s[10:11], s[10:11] op_sel:[0,1]
	s_and_saveexec_b64 s[10:11], s[8:9]
	s_cbranch_execz .LBB15_9
; %bb.8:
	global_load_dwordx2 v[14:15], v[28:29], off offset:1536
.LBB15_9:
	s_or_b64 exec, exec, s[10:11]
	s_mov_b32 s14, 0
	v_add_u32_e32 v5, 0x100, v4
	s_brev_b32 s15, 1
	v_cmp_gt_u32_e64 s[10:11], s70, v5
	v_pk_mov_b32 v[18:19], s[14:15], s[14:15] op_sel:[0,1]
	s_and_saveexec_b64 s[12:13], s[10:11]
	s_cbranch_execz .LBB15_11
; %bb.10:
	global_load_dwordx2 v[18:19], v[28:29], off offset:2048
.LBB15_11:
	;; [unrolled: 20-line block ×3, first 2 shown]
	s_or_b64 exec, exec, s[16:17]
	v_add_u32_e32 v5, 0x1c0, v4
	v_cmp_gt_u32_e64 s[16:17], s70, v5
	v_pk_mov_b32 v[22:23], s[18:19], s[18:19] op_sel:[0,1]
	s_and_saveexec_b64 s[18:19], s[16:17]
	s_cbranch_execz .LBB15_17
; %bb.16:
	global_load_dwordx2 v[22:23], v[28:29], off offset:3584
.LBB15_17:
	s_or_b64 exec, exec, s[18:19]
	s_mov_b32 s22, 0
	v_add_u32_e32 v5, 0x200, v4
	s_brev_b32 s23, 1
	v_cmp_gt_u32_e64 s[18:19], s70, v5
	v_pk_mov_b32 v[20:21], s[22:23], s[22:23] op_sel:[0,1]
	s_and_saveexec_b64 s[20:21], s[18:19]
	s_cbranch_execz .LBB15_19
; %bb.18:
	v_add_co_u32_e32 v12, vcc, 0x1000, v28
	v_addc_co_u32_e32 v13, vcc, 0, v29, vcc
	global_load_dwordx2 v[20:21], v[12:13], off
.LBB15_19:
	s_or_b64 exec, exec, s[20:21]
	v_add_u32_e32 v5, 0x240, v4
	v_cmp_gt_u32_e64 s[20:21], s70, v5
	v_pk_mov_b32 v[16:17], s[22:23], s[22:23] op_sel:[0,1]
	s_and_saveexec_b64 s[22:23], s[20:21]
	s_cbranch_execz .LBB15_21
; %bb.20:
	v_add_co_u32_e32 v12, vcc, 0x1000, v28
	v_addc_co_u32_e32 v13, vcc, 0, v29, vcc
	global_load_dwordx2 v[16:17], v[12:13], off offset:512
.LBB15_21:
	s_or_b64 exec, exec, s[22:23]
	s_mov_b32 s26, 0
	v_add_u32_e32 v5, 0x280, v4
	s_brev_b32 s27, 1
	v_cmp_gt_u32_e64 s[22:23], s70, v5
	v_pk_mov_b32 v[12:13], s[26:27], s[26:27] op_sel:[0,1]
	s_and_saveexec_b64 s[24:25], s[22:23]
	s_cbranch_execz .LBB15_23
; %bb.22:
	v_add_co_u32_e32 v12, vcc, 0x1000, v28
	v_addc_co_u32_e32 v13, vcc, 0, v29, vcc
	global_load_dwordx2 v[12:13], v[12:13], off offset:1024
.LBB15_23:
	s_or_b64 exec, exec, s[24:25]
	v_add_u32_e32 v4, 0x2c0, v4
	v_cmp_gt_u32_e64 s[24:25], s70, v4
	v_pk_mov_b32 v[4:5], s[26:27], s[26:27] op_sel:[0,1]
	s_and_saveexec_b64 s[26:27], s[24:25]
	s_cbranch_execz .LBB15_25
; %bb.24:
	v_add_co_u32_e32 v4, vcc, 0x1000, v28
	v_addc_co_u32_e32 v5, vcc, 0, v29, vcc
	global_load_dwordx2 v[4:5], v[4:5], off offset:1536
.LBB15_25:
	s_or_b64 exec, exec, s[26:27]
	s_load_dword s26, s[4:5], 0x5c
	s_load_dword s33, s[4:5], 0x50
	s_add_u32 s27, s4, 0x50
	s_addc_u32 s28, s5, 0
	v_mov_b32_e32 v28, 0
	s_waitcnt lgkmcnt(0)
	s_lshr_b32 s29, s26, 16
	s_cmp_lt_u32 s6, s33
	s_cselect_b32 s26, 12, 18
	s_add_u32 s26, s27, s26
	s_addc_u32 s27, s28, 0
	global_load_ushort v35, v28, s[26:27]
	s_waitcnt vmcnt(1)
	v_xor_b32_e32 v7, 0x7fffffff, v7
	v_not_b32_e32 v6, v6
	v_mul_u32_u24_e32 v30, 5, v2
	s_lshl_b32 s26, -1, s69
	v_lshlrev_b32_e32 v34, 2, v30
	v_lshrrev_b64 v[30:31], s68, v[6:7]
	s_not_b32 s55, s26
	v_and_b32_e32 v30, s55, v30
	v_and_b32_e32 v37, 1, v30
	v_bfe_u32 v29, v0, 10, 10
	v_bfe_u32 v36, v0, 20, 10
	v_add_co_u32_e32 v38, vcc, -1, v37
	v_mad_u32_u24 v31, v36, s29, v29
	v_lshlrev_b32_e32 v29, 30, v30
	v_addc_co_u32_e64 v39, s[26:27], 0, -1, vcc
	v_cmp_ne_u32_e32 vcc, 0, v37
	v_cmp_gt_i64_e64 s[26:27], 0, v[28:29]
	v_not_b32_e32 v37, v29
	v_lshlrev_b32_e32 v29, 29, v30
	v_xor_b32_e32 v39, vcc_hi, v39
	v_xor_b32_e32 v38, vcc_lo, v38
	v_ashrrev_i32_e32 v37, 31, v37
	v_cmp_gt_i64_e32 vcc, 0, v[28:29]
	v_not_b32_e32 v40, v29
	v_lshlrev_b32_e32 v29, 28, v30
	v_and_b32_e32 v39, exec_hi, v39
	v_and_b32_e32 v38, exec_lo, v38
	v_xor_b32_e32 v41, s27, v37
	v_xor_b32_e32 v37, s26, v37
	v_ashrrev_i32_e32 v40, 31, v40
	v_cmp_gt_i64_e64 s[26:27], 0, v[28:29]
	v_not_b32_e32 v42, v29
	v_lshlrev_b32_e32 v29, 27, v30
	v_and_b32_e32 v39, v39, v41
	v_and_b32_e32 v37, v38, v37
	v_xor_b32_e32 v38, vcc_hi, v40
	v_xor_b32_e32 v40, vcc_lo, v40
	v_ashrrev_i32_e32 v41, 31, v42
	v_cmp_gt_i64_e32 vcc, 0, v[28:29]
	v_not_b32_e32 v42, v29
	v_lshlrev_b32_e32 v29, 26, v30
	v_and_b32_e32 v38, v39, v38
	v_and_b32_e32 v37, v37, v40
	v_xor_b32_e32 v39, s27, v41
	v_xor_b32_e32 v40, s26, v41
	v_ashrrev_i32_e32 v41, 31, v42
	v_cmp_gt_i64_e64 s[26:27], 0, v[28:29]
	v_not_b32_e32 v42, v29
	v_lshlrev_b32_e32 v29, 25, v30
	v_and_b32_e32 v38, v38, v39
	v_and_b32_e32 v37, v37, v40
	v_xor_b32_e32 v39, vcc_hi, v41
	v_xor_b32_e32 v40, vcc_lo, v41
	v_ashrrev_i32_e32 v41, 31, v42
	v_not_b32_e32 v42, v29
	v_lshl_add_u32 v36, v30, 2, v30
	v_cmp_gt_i64_e32 vcc, 0, v[28:29]
	v_lshlrev_b32_e32 v29, 24, v30
	v_and_b32_e32 v30, v38, v39
	v_and_b32_e32 v37, v37, v40
	v_xor_b32_e32 v38, s27, v41
	v_ashrrev_i32_e32 v40, 31, v42
	v_xor_b32_e32 v39, s26, v41
	v_cmp_gt_i64_e64 s[26:27], 0, v[28:29]
	v_and_b32_e32 v30, v30, v38
	v_xor_b32_e32 v38, vcc_hi, v40
	v_not_b32_e32 v29, v29
	v_and_b32_e32 v37, v37, v39
	v_xor_b32_e32 v39, vcc_lo, v40
	v_and_b32_e32 v38, v30, v38
	v_ashrrev_i32_e32 v29, 31, v29
	v_and_b32_e32 v37, v37, v39
	ds_write2_b32 v34, v28, v28 offset0:4 offset1:5
	ds_write2_b32 v34, v28, v28 offset0:6 offset1:7
	ds_write_b32 v34, v28 offset:32
	s_waitcnt lgkmcnt(0)
	s_barrier
	s_waitcnt vmcnt(0)
	v_mad_u64_u32 v[30:31], s[28:29], v31, v35, v[2:3]
	v_lshrrev_b32_e32 v43, 6, v30
	v_xor_b32_e32 v30, s27, v29
	v_xor_b32_e32 v29, s26, v29
	v_and_b32_e32 v31, v38, v30
	v_and_b32_e32 v30, v37, v29
	v_mbcnt_lo_u32_b32 v29, v30, 0
	v_mbcnt_hi_u32_b32 v35, v31, v29
	v_cmp_eq_u32_e32 vcc, 0, v35
	v_cmp_ne_u64_e64 s[26:27], 0, v[30:31]
	v_add_lshl_u32 v36, v43, v36, 2
	s_and_b64 s[28:29], s[26:27], vcc
	; wave barrier
	s_and_saveexec_b64 s[26:27], s[28:29]
	s_cbranch_execz .LBB15_27
; %bb.26:
	v_bcnt_u32_b32 v29, v30, 0
	v_bcnt_u32_b32 v29, v31, v29
	ds_write_b32 v36, v29 offset:16
.LBB15_27:
	s_or_b64 exec, exec, s[26:27]
	v_xor_b32_e32 v9, 0x7fffffff, v9
	v_not_b32_e32 v8, v8
	v_lshrrev_b64 v[30:31], s68, v[8:9]
	v_and_b32_e32 v30, s55, v30
	v_lshl_add_u32 v29, v30, 2, v30
	v_add_lshl_u32 v38, v43, v29, 2
	v_and_b32_e32 v29, 1, v30
	v_add_co_u32_e32 v31, vcc, -1, v29
	v_addc_co_u32_e64 v39, s[26:27], 0, -1, vcc
	v_cmp_ne_u32_e32 vcc, 0, v29
	v_xor_b32_e32 v29, vcc_hi, v39
	v_and_b32_e32 v39, exec_hi, v29
	v_lshlrev_b32_e32 v29, 30, v30
	v_xor_b32_e32 v31, vcc_lo, v31
	v_cmp_gt_i64_e32 vcc, 0, v[28:29]
	v_not_b32_e32 v29, v29
	v_ashrrev_i32_e32 v29, 31, v29
	v_and_b32_e32 v31, exec_lo, v31
	v_xor_b32_e32 v40, vcc_hi, v29
	v_xor_b32_e32 v29, vcc_lo, v29
	v_and_b32_e32 v31, v31, v29
	v_lshlrev_b32_e32 v29, 29, v30
	v_cmp_gt_i64_e32 vcc, 0, v[28:29]
	v_not_b32_e32 v29, v29
	v_ashrrev_i32_e32 v29, 31, v29
	v_and_b32_e32 v39, v39, v40
	v_xor_b32_e32 v40, vcc_hi, v29
	v_xor_b32_e32 v29, vcc_lo, v29
	v_and_b32_e32 v31, v31, v29
	v_lshlrev_b32_e32 v29, 28, v30
	v_cmp_gt_i64_e32 vcc, 0, v[28:29]
	v_not_b32_e32 v29, v29
	v_ashrrev_i32_e32 v29, 31, v29
	v_and_b32_e32 v39, v39, v40
	;; [unrolled: 8-line block ×5, first 2 shown]
	v_xor_b32_e32 v40, vcc_hi, v29
	v_xor_b32_e32 v29, vcc_lo, v29
	v_and_b32_e32 v31, v31, v29
	v_lshlrev_b32_e32 v29, 24, v30
	v_cmp_gt_i64_e32 vcc, 0, v[28:29]
	v_not_b32_e32 v28, v29
	v_ashrrev_i32_e32 v28, 31, v28
	v_xor_b32_e32 v29, vcc_hi, v28
	v_xor_b32_e32 v28, vcc_lo, v28
	; wave barrier
	ds_read_b32 v37, v38 offset:16
	v_and_b32_e32 v39, v39, v40
	v_and_b32_e32 v28, v31, v28
	v_and_b32_e32 v29, v39, v29
	v_mbcnt_lo_u32_b32 v30, v28, 0
	v_mbcnt_hi_u32_b32 v39, v29, v30
	v_cmp_eq_u32_e32 vcc, 0, v39
	v_cmp_ne_u64_e64 s[26:27], 0, v[28:29]
	s_and_b64 s[28:29], s[26:27], vcc
	; wave barrier
	s_and_saveexec_b64 s[26:27], s[28:29]
	s_cbranch_execz .LBB15_29
; %bb.28:
	v_bcnt_u32_b32 v28, v28, 0
	v_bcnt_u32_b32 v28, v29, v28
	s_waitcnt lgkmcnt(0)
	v_add_u32_e32 v28, v37, v28
	ds_write_b32 v38, v28 offset:16
.LBB15_29:
	s_or_b64 exec, exec, s[26:27]
	v_xor_b32_e32 v11, 0x7fffffff, v11
	v_not_b32_e32 v10, v10
	v_lshrrev_b64 v[28:29], s68, v[10:11]
	v_and_b32_e32 v30, s55, v28
	v_and_b32_e32 v29, 1, v30
	v_add_co_u32_e32 v31, vcc, -1, v29
	v_addc_co_u32_e64 v42, s[26:27], 0, -1, vcc
	v_cmp_ne_u32_e32 vcc, 0, v29
	v_lshl_add_u32 v28, v30, 2, v30
	v_xor_b32_e32 v29, vcc_hi, v42
	v_add_lshl_u32 v41, v43, v28, 2
	v_mov_b32_e32 v28, 0
	v_and_b32_e32 v42, exec_hi, v29
	v_lshlrev_b32_e32 v29, 30, v30
	v_xor_b32_e32 v31, vcc_lo, v31
	v_cmp_gt_i64_e32 vcc, 0, v[28:29]
	v_not_b32_e32 v29, v29
	v_ashrrev_i32_e32 v29, 31, v29
	v_and_b32_e32 v31, exec_lo, v31
	v_xor_b32_e32 v44, vcc_hi, v29
	v_xor_b32_e32 v29, vcc_lo, v29
	v_and_b32_e32 v31, v31, v29
	v_lshlrev_b32_e32 v29, 29, v30
	v_cmp_gt_i64_e32 vcc, 0, v[28:29]
	v_not_b32_e32 v29, v29
	v_ashrrev_i32_e32 v29, 31, v29
	v_and_b32_e32 v42, v42, v44
	v_xor_b32_e32 v44, vcc_hi, v29
	v_xor_b32_e32 v29, vcc_lo, v29
	v_and_b32_e32 v31, v31, v29
	v_lshlrev_b32_e32 v29, 28, v30
	v_cmp_gt_i64_e32 vcc, 0, v[28:29]
	v_not_b32_e32 v29, v29
	v_ashrrev_i32_e32 v29, 31, v29
	v_and_b32_e32 v42, v42, v44
	;; [unrolled: 8-line block ×5, first 2 shown]
	v_xor_b32_e32 v44, vcc_hi, v29
	v_xor_b32_e32 v29, vcc_lo, v29
	v_and_b32_e32 v42, v42, v44
	v_and_b32_e32 v44, v31, v29
	v_lshlrev_b32_e32 v29, 24, v30
	v_cmp_gt_i64_e32 vcc, 0, v[28:29]
	v_not_b32_e32 v29, v29
	v_ashrrev_i32_e32 v29, 31, v29
	v_xor_b32_e32 v30, vcc_hi, v29
	v_xor_b32_e32 v29, vcc_lo, v29
	; wave barrier
	ds_read_b32 v40, v41 offset:16
	v_and_b32_e32 v31, v42, v30
	v_and_b32_e32 v30, v44, v29
	v_mbcnt_lo_u32_b32 v29, v30, 0
	v_mbcnt_hi_u32_b32 v42, v31, v29
	v_cmp_eq_u32_e32 vcc, 0, v42
	v_cmp_ne_u64_e64 s[26:27], 0, v[30:31]
	s_and_b64 s[28:29], s[26:27], vcc
	; wave barrier
	s_and_saveexec_b64 s[26:27], s[28:29]
	s_cbranch_execz .LBB15_31
; %bb.30:
	v_bcnt_u32_b32 v29, v30, 0
	v_bcnt_u32_b32 v29, v31, v29
	s_waitcnt lgkmcnt(0)
	v_add_u32_e32 v29, v40, v29
	ds_write_b32 v41, v29 offset:16
.LBB15_31:
	s_or_b64 exec, exec, s[26:27]
	v_xor_b32_e32 v15, 0x7fffffff, v15
	v_not_b32_e32 v14, v14
	v_lshrrev_b64 v[30:31], s68, v[14:15]
	v_and_b32_e32 v30, s55, v30
	v_lshl_add_u32 v29, v30, 2, v30
	v_add_lshl_u32 v45, v43, v29, 2
	v_and_b32_e32 v29, 1, v30
	v_add_co_u32_e32 v31, vcc, -1, v29
	v_addc_co_u32_e64 v46, s[26:27], 0, -1, vcc
	v_cmp_ne_u32_e32 vcc, 0, v29
	v_xor_b32_e32 v29, vcc_hi, v46
	v_and_b32_e32 v46, exec_hi, v29
	v_lshlrev_b32_e32 v29, 30, v30
	v_xor_b32_e32 v31, vcc_lo, v31
	v_cmp_gt_i64_e32 vcc, 0, v[28:29]
	v_not_b32_e32 v29, v29
	v_ashrrev_i32_e32 v29, 31, v29
	v_and_b32_e32 v31, exec_lo, v31
	v_xor_b32_e32 v47, vcc_hi, v29
	v_xor_b32_e32 v29, vcc_lo, v29
	v_and_b32_e32 v31, v31, v29
	v_lshlrev_b32_e32 v29, 29, v30
	v_cmp_gt_i64_e32 vcc, 0, v[28:29]
	v_not_b32_e32 v29, v29
	v_ashrrev_i32_e32 v29, 31, v29
	v_and_b32_e32 v46, v46, v47
	v_xor_b32_e32 v47, vcc_hi, v29
	v_xor_b32_e32 v29, vcc_lo, v29
	v_and_b32_e32 v31, v31, v29
	v_lshlrev_b32_e32 v29, 28, v30
	v_cmp_gt_i64_e32 vcc, 0, v[28:29]
	v_not_b32_e32 v29, v29
	v_ashrrev_i32_e32 v29, 31, v29
	v_and_b32_e32 v46, v46, v47
	;; [unrolled: 8-line block ×5, first 2 shown]
	v_xor_b32_e32 v47, vcc_hi, v29
	v_xor_b32_e32 v29, vcc_lo, v29
	v_and_b32_e32 v31, v31, v29
	v_lshlrev_b32_e32 v29, 24, v30
	v_cmp_gt_i64_e32 vcc, 0, v[28:29]
	v_not_b32_e32 v28, v29
	v_ashrrev_i32_e32 v28, 31, v28
	v_xor_b32_e32 v29, vcc_hi, v28
	v_xor_b32_e32 v28, vcc_lo, v28
	; wave barrier
	ds_read_b32 v44, v45 offset:16
	v_and_b32_e32 v46, v46, v47
	v_and_b32_e32 v28, v31, v28
	;; [unrolled: 1-line block ×3, first 2 shown]
	v_mbcnt_lo_u32_b32 v30, v28, 0
	v_mbcnt_hi_u32_b32 v46, v29, v30
	v_cmp_eq_u32_e32 vcc, 0, v46
	v_cmp_ne_u64_e64 s[26:27], 0, v[28:29]
	s_and_b64 s[28:29], s[26:27], vcc
	; wave barrier
	s_and_saveexec_b64 s[26:27], s[28:29]
	s_cbranch_execz .LBB15_33
; %bb.32:
	v_bcnt_u32_b32 v28, v28, 0
	v_bcnt_u32_b32 v28, v29, v28
	s_waitcnt lgkmcnt(0)
	v_add_u32_e32 v28, v44, v28
	ds_write_b32 v45, v28 offset:16
.LBB15_33:
	s_or_b64 exec, exec, s[26:27]
	v_xor_b32_e32 v19, 0x7fffffff, v19
	v_not_b32_e32 v18, v18
	v_lshrrev_b64 v[28:29], s68, v[18:19]
	v_and_b32_e32 v30, s55, v28
	v_and_b32_e32 v29, 1, v30
	v_add_co_u32_e32 v31, vcc, -1, v29
	v_addc_co_u32_e64 v49, s[26:27], 0, -1, vcc
	v_cmp_ne_u32_e32 vcc, 0, v29
	v_lshl_add_u32 v28, v30, 2, v30
	v_xor_b32_e32 v29, vcc_hi, v49
	v_add_lshl_u32 v48, v43, v28, 2
	v_mov_b32_e32 v28, 0
	v_and_b32_e32 v49, exec_hi, v29
	v_lshlrev_b32_e32 v29, 30, v30
	v_xor_b32_e32 v31, vcc_lo, v31
	v_cmp_gt_i64_e32 vcc, 0, v[28:29]
	v_not_b32_e32 v29, v29
	v_ashrrev_i32_e32 v29, 31, v29
	v_and_b32_e32 v31, exec_lo, v31
	v_xor_b32_e32 v50, vcc_hi, v29
	v_xor_b32_e32 v29, vcc_lo, v29
	v_and_b32_e32 v31, v31, v29
	v_lshlrev_b32_e32 v29, 29, v30
	v_cmp_gt_i64_e32 vcc, 0, v[28:29]
	v_not_b32_e32 v29, v29
	v_ashrrev_i32_e32 v29, 31, v29
	v_and_b32_e32 v49, v49, v50
	v_xor_b32_e32 v50, vcc_hi, v29
	v_xor_b32_e32 v29, vcc_lo, v29
	v_and_b32_e32 v31, v31, v29
	v_lshlrev_b32_e32 v29, 28, v30
	v_cmp_gt_i64_e32 vcc, 0, v[28:29]
	v_not_b32_e32 v29, v29
	v_ashrrev_i32_e32 v29, 31, v29
	v_and_b32_e32 v49, v49, v50
	v_xor_b32_e32 v50, vcc_hi, v29
	v_xor_b32_e32 v29, vcc_lo, v29
	v_and_b32_e32 v31, v31, v29
	v_lshlrev_b32_e32 v29, 27, v30
	v_cmp_gt_i64_e32 vcc, 0, v[28:29]
	v_not_b32_e32 v29, v29
	v_ashrrev_i32_e32 v29, 31, v29
	v_and_b32_e32 v49, v49, v50
	v_xor_b32_e32 v50, vcc_hi, v29
	v_xor_b32_e32 v29, vcc_lo, v29
	v_and_b32_e32 v31, v31, v29
	v_lshlrev_b32_e32 v29, 26, v30
	v_cmp_gt_i64_e32 vcc, 0, v[28:29]
	v_not_b32_e32 v29, v29
	v_ashrrev_i32_e32 v29, 31, v29
	v_and_b32_e32 v49, v49, v50
	v_xor_b32_e32 v50, vcc_hi, v29
	v_xor_b32_e32 v29, vcc_lo, v29
	v_and_b32_e32 v31, v31, v29
	v_lshlrev_b32_e32 v29, 25, v30
	v_cmp_gt_i64_e32 vcc, 0, v[28:29]
	v_not_b32_e32 v29, v29
	v_ashrrev_i32_e32 v29, 31, v29
	v_and_b32_e32 v49, v49, v50
	v_xor_b32_e32 v50, vcc_hi, v29
	v_xor_b32_e32 v29, vcc_lo, v29
	v_and_b32_e32 v49, v49, v50
	v_and_b32_e32 v50, v31, v29
	v_lshlrev_b32_e32 v29, 24, v30
	v_cmp_gt_i64_e32 vcc, 0, v[28:29]
	v_not_b32_e32 v29, v29
	v_ashrrev_i32_e32 v29, 31, v29
	v_xor_b32_e32 v30, vcc_hi, v29
	v_xor_b32_e32 v29, vcc_lo, v29
	; wave barrier
	ds_read_b32 v47, v48 offset:16
	v_and_b32_e32 v31, v49, v30
	v_and_b32_e32 v30, v50, v29
	v_mbcnt_lo_u32_b32 v29, v30, 0
	v_mbcnt_hi_u32_b32 v49, v31, v29
	v_cmp_eq_u32_e32 vcc, 0, v49
	v_cmp_ne_u64_e64 s[26:27], 0, v[30:31]
	s_and_b64 s[28:29], s[26:27], vcc
	; wave barrier
	s_and_saveexec_b64 s[26:27], s[28:29]
	s_cbranch_execz .LBB15_35
; %bb.34:
	v_bcnt_u32_b32 v29, v30, 0
	v_bcnt_u32_b32 v29, v31, v29
	s_waitcnt lgkmcnt(0)
	v_add_u32_e32 v29, v47, v29
	ds_write_b32 v48, v29 offset:16
.LBB15_35:
	s_or_b64 exec, exec, s[26:27]
	v_xor_b32_e32 v25, 0x7fffffff, v25
	v_not_b32_e32 v24, v24
	v_lshrrev_b64 v[30:31], s68, v[24:25]
	v_and_b32_e32 v30, s55, v30
	v_lshl_add_u32 v29, v30, 2, v30
	v_add_lshl_u32 v51, v43, v29, 2
	v_and_b32_e32 v29, 1, v30
	v_add_co_u32_e32 v31, vcc, -1, v29
	v_addc_co_u32_e64 v52, s[26:27], 0, -1, vcc
	v_cmp_ne_u32_e32 vcc, 0, v29
	v_xor_b32_e32 v29, vcc_hi, v52
	v_and_b32_e32 v52, exec_hi, v29
	v_lshlrev_b32_e32 v29, 30, v30
	v_xor_b32_e32 v31, vcc_lo, v31
	v_cmp_gt_i64_e32 vcc, 0, v[28:29]
	v_not_b32_e32 v29, v29
	v_ashrrev_i32_e32 v29, 31, v29
	v_and_b32_e32 v31, exec_lo, v31
	v_xor_b32_e32 v53, vcc_hi, v29
	v_xor_b32_e32 v29, vcc_lo, v29
	v_and_b32_e32 v31, v31, v29
	v_lshlrev_b32_e32 v29, 29, v30
	v_cmp_gt_i64_e32 vcc, 0, v[28:29]
	v_not_b32_e32 v29, v29
	v_ashrrev_i32_e32 v29, 31, v29
	v_and_b32_e32 v52, v52, v53
	v_xor_b32_e32 v53, vcc_hi, v29
	v_xor_b32_e32 v29, vcc_lo, v29
	v_and_b32_e32 v31, v31, v29
	v_lshlrev_b32_e32 v29, 28, v30
	v_cmp_gt_i64_e32 vcc, 0, v[28:29]
	v_not_b32_e32 v29, v29
	v_ashrrev_i32_e32 v29, 31, v29
	v_and_b32_e32 v52, v52, v53
	;; [unrolled: 8-line block ×5, first 2 shown]
	v_xor_b32_e32 v53, vcc_hi, v29
	v_xor_b32_e32 v29, vcc_lo, v29
	v_and_b32_e32 v31, v31, v29
	v_lshlrev_b32_e32 v29, 24, v30
	v_cmp_gt_i64_e32 vcc, 0, v[28:29]
	v_not_b32_e32 v28, v29
	v_ashrrev_i32_e32 v28, 31, v28
	v_xor_b32_e32 v29, vcc_hi, v28
	v_xor_b32_e32 v28, vcc_lo, v28
	; wave barrier
	ds_read_b32 v50, v51 offset:16
	v_and_b32_e32 v52, v52, v53
	v_and_b32_e32 v28, v31, v28
	;; [unrolled: 1-line block ×3, first 2 shown]
	v_mbcnt_lo_u32_b32 v30, v28, 0
	v_mbcnt_hi_u32_b32 v52, v29, v30
	v_cmp_eq_u32_e32 vcc, 0, v52
	v_cmp_ne_u64_e64 s[26:27], 0, v[28:29]
	s_and_b64 s[28:29], s[26:27], vcc
	; wave barrier
	s_and_saveexec_b64 s[26:27], s[28:29]
	s_cbranch_execz .LBB15_37
; %bb.36:
	v_bcnt_u32_b32 v28, v28, 0
	v_bcnt_u32_b32 v28, v29, v28
	s_waitcnt lgkmcnt(0)
	v_add_u32_e32 v28, v50, v28
	ds_write_b32 v51, v28 offset:16
.LBB15_37:
	s_or_b64 exec, exec, s[26:27]
	v_xor_b32_e32 v27, 0x7fffffff, v27
	v_not_b32_e32 v26, v26
	v_lshrrev_b64 v[28:29], s68, v[26:27]
	v_and_b32_e32 v30, s55, v28
	v_and_b32_e32 v29, 1, v30
	v_add_co_u32_e32 v31, vcc, -1, v29
	v_addc_co_u32_e64 v55, s[26:27], 0, -1, vcc
	v_cmp_ne_u32_e32 vcc, 0, v29
	v_lshl_add_u32 v28, v30, 2, v30
	v_xor_b32_e32 v29, vcc_hi, v55
	v_add_lshl_u32 v54, v43, v28, 2
	v_mov_b32_e32 v28, 0
	v_and_b32_e32 v55, exec_hi, v29
	v_lshlrev_b32_e32 v29, 30, v30
	v_xor_b32_e32 v31, vcc_lo, v31
	v_cmp_gt_i64_e32 vcc, 0, v[28:29]
	v_not_b32_e32 v29, v29
	v_ashrrev_i32_e32 v29, 31, v29
	v_and_b32_e32 v31, exec_lo, v31
	v_xor_b32_e32 v56, vcc_hi, v29
	v_xor_b32_e32 v29, vcc_lo, v29
	v_and_b32_e32 v31, v31, v29
	v_lshlrev_b32_e32 v29, 29, v30
	v_cmp_gt_i64_e32 vcc, 0, v[28:29]
	v_not_b32_e32 v29, v29
	v_ashrrev_i32_e32 v29, 31, v29
	v_and_b32_e32 v55, v55, v56
	v_xor_b32_e32 v56, vcc_hi, v29
	v_xor_b32_e32 v29, vcc_lo, v29
	v_and_b32_e32 v31, v31, v29
	v_lshlrev_b32_e32 v29, 28, v30
	v_cmp_gt_i64_e32 vcc, 0, v[28:29]
	v_not_b32_e32 v29, v29
	v_ashrrev_i32_e32 v29, 31, v29
	v_and_b32_e32 v55, v55, v56
	;; [unrolled: 8-line block ×5, first 2 shown]
	v_xor_b32_e32 v56, vcc_hi, v29
	v_xor_b32_e32 v29, vcc_lo, v29
	v_and_b32_e32 v55, v55, v56
	v_and_b32_e32 v56, v31, v29
	v_lshlrev_b32_e32 v29, 24, v30
	v_cmp_gt_i64_e32 vcc, 0, v[28:29]
	v_not_b32_e32 v29, v29
	v_ashrrev_i32_e32 v29, 31, v29
	v_xor_b32_e32 v30, vcc_hi, v29
	v_xor_b32_e32 v29, vcc_lo, v29
	; wave barrier
	ds_read_b32 v53, v54 offset:16
	v_and_b32_e32 v31, v55, v30
	v_and_b32_e32 v30, v56, v29
	v_mbcnt_lo_u32_b32 v29, v30, 0
	v_mbcnt_hi_u32_b32 v55, v31, v29
	v_cmp_eq_u32_e32 vcc, 0, v55
	v_cmp_ne_u64_e64 s[26:27], 0, v[30:31]
	s_and_b64 s[28:29], s[26:27], vcc
	; wave barrier
	s_and_saveexec_b64 s[26:27], s[28:29]
	s_cbranch_execz .LBB15_39
; %bb.38:
	v_bcnt_u32_b32 v29, v30, 0
	v_bcnt_u32_b32 v29, v31, v29
	s_waitcnt lgkmcnt(0)
	v_add_u32_e32 v29, v53, v29
	ds_write_b32 v54, v29 offset:16
.LBB15_39:
	s_or_b64 exec, exec, s[26:27]
	v_xor_b32_e32 v23, 0x7fffffff, v23
	v_not_b32_e32 v22, v22
	v_lshrrev_b64 v[30:31], s68, v[22:23]
	v_and_b32_e32 v30, s55, v30
	v_lshl_add_u32 v29, v30, 2, v30
	v_add_lshl_u32 v57, v43, v29, 2
	v_and_b32_e32 v29, 1, v30
	v_add_co_u32_e32 v31, vcc, -1, v29
	v_addc_co_u32_e64 v58, s[26:27], 0, -1, vcc
	v_cmp_ne_u32_e32 vcc, 0, v29
	v_xor_b32_e32 v29, vcc_hi, v58
	v_and_b32_e32 v58, exec_hi, v29
	v_lshlrev_b32_e32 v29, 30, v30
	v_xor_b32_e32 v31, vcc_lo, v31
	v_cmp_gt_i64_e32 vcc, 0, v[28:29]
	v_not_b32_e32 v29, v29
	v_ashrrev_i32_e32 v29, 31, v29
	v_and_b32_e32 v31, exec_lo, v31
	v_xor_b32_e32 v59, vcc_hi, v29
	v_xor_b32_e32 v29, vcc_lo, v29
	v_and_b32_e32 v31, v31, v29
	v_lshlrev_b32_e32 v29, 29, v30
	v_cmp_gt_i64_e32 vcc, 0, v[28:29]
	v_not_b32_e32 v29, v29
	v_ashrrev_i32_e32 v29, 31, v29
	v_and_b32_e32 v58, v58, v59
	v_xor_b32_e32 v59, vcc_hi, v29
	v_xor_b32_e32 v29, vcc_lo, v29
	v_and_b32_e32 v31, v31, v29
	v_lshlrev_b32_e32 v29, 28, v30
	v_cmp_gt_i64_e32 vcc, 0, v[28:29]
	v_not_b32_e32 v29, v29
	v_ashrrev_i32_e32 v29, 31, v29
	v_and_b32_e32 v58, v58, v59
	;; [unrolled: 8-line block ×5, first 2 shown]
	v_xor_b32_e32 v59, vcc_hi, v29
	v_xor_b32_e32 v29, vcc_lo, v29
	v_and_b32_e32 v31, v31, v29
	v_lshlrev_b32_e32 v29, 24, v30
	v_cmp_gt_i64_e32 vcc, 0, v[28:29]
	v_not_b32_e32 v28, v29
	v_ashrrev_i32_e32 v28, 31, v28
	v_xor_b32_e32 v29, vcc_hi, v28
	v_xor_b32_e32 v28, vcc_lo, v28
	; wave barrier
	ds_read_b32 v56, v57 offset:16
	v_and_b32_e32 v58, v58, v59
	v_and_b32_e32 v28, v31, v28
	;; [unrolled: 1-line block ×3, first 2 shown]
	v_mbcnt_lo_u32_b32 v30, v28, 0
	v_mbcnt_hi_u32_b32 v58, v29, v30
	v_cmp_eq_u32_e32 vcc, 0, v58
	v_cmp_ne_u64_e64 s[26:27], 0, v[28:29]
	s_and_b64 s[28:29], s[26:27], vcc
	; wave barrier
	s_and_saveexec_b64 s[26:27], s[28:29]
	s_cbranch_execz .LBB15_41
; %bb.40:
	v_bcnt_u32_b32 v28, v28, 0
	v_bcnt_u32_b32 v28, v29, v28
	s_waitcnt lgkmcnt(0)
	v_add_u32_e32 v28, v56, v28
	ds_write_b32 v57, v28 offset:16
.LBB15_41:
	s_or_b64 exec, exec, s[26:27]
	v_xor_b32_e32 v21, 0x7fffffff, v21
	v_not_b32_e32 v20, v20
	v_lshrrev_b64 v[28:29], s68, v[20:21]
	v_and_b32_e32 v30, s55, v28
	v_and_b32_e32 v29, 1, v30
	v_add_co_u32_e32 v31, vcc, -1, v29
	v_addc_co_u32_e64 v61, s[26:27], 0, -1, vcc
	v_cmp_ne_u32_e32 vcc, 0, v29
	v_lshl_add_u32 v28, v30, 2, v30
	v_xor_b32_e32 v29, vcc_hi, v61
	v_add_lshl_u32 v60, v43, v28, 2
	v_mov_b32_e32 v28, 0
	v_and_b32_e32 v61, exec_hi, v29
	v_lshlrev_b32_e32 v29, 30, v30
	v_xor_b32_e32 v31, vcc_lo, v31
	v_cmp_gt_i64_e32 vcc, 0, v[28:29]
	v_not_b32_e32 v29, v29
	v_ashrrev_i32_e32 v29, 31, v29
	v_and_b32_e32 v31, exec_lo, v31
	v_xor_b32_e32 v62, vcc_hi, v29
	v_xor_b32_e32 v29, vcc_lo, v29
	v_and_b32_e32 v31, v31, v29
	v_lshlrev_b32_e32 v29, 29, v30
	v_cmp_gt_i64_e32 vcc, 0, v[28:29]
	v_not_b32_e32 v29, v29
	v_ashrrev_i32_e32 v29, 31, v29
	v_and_b32_e32 v61, v61, v62
	v_xor_b32_e32 v62, vcc_hi, v29
	v_xor_b32_e32 v29, vcc_lo, v29
	v_and_b32_e32 v31, v31, v29
	v_lshlrev_b32_e32 v29, 28, v30
	v_cmp_gt_i64_e32 vcc, 0, v[28:29]
	v_not_b32_e32 v29, v29
	v_ashrrev_i32_e32 v29, 31, v29
	v_and_b32_e32 v61, v61, v62
	;; [unrolled: 8-line block ×5, first 2 shown]
	v_xor_b32_e32 v62, vcc_hi, v29
	v_xor_b32_e32 v29, vcc_lo, v29
	v_and_b32_e32 v61, v61, v62
	v_and_b32_e32 v62, v31, v29
	v_lshlrev_b32_e32 v29, 24, v30
	v_cmp_gt_i64_e32 vcc, 0, v[28:29]
	v_not_b32_e32 v29, v29
	v_ashrrev_i32_e32 v29, 31, v29
	v_xor_b32_e32 v30, vcc_hi, v29
	v_xor_b32_e32 v29, vcc_lo, v29
	; wave barrier
	ds_read_b32 v59, v60 offset:16
	v_and_b32_e32 v31, v61, v30
	v_and_b32_e32 v30, v62, v29
	v_mbcnt_lo_u32_b32 v29, v30, 0
	v_mbcnt_hi_u32_b32 v61, v31, v29
	v_cmp_eq_u32_e32 vcc, 0, v61
	v_cmp_ne_u64_e64 s[26:27], 0, v[30:31]
	s_and_b64 s[28:29], s[26:27], vcc
	; wave barrier
	s_and_saveexec_b64 s[26:27], s[28:29]
	s_cbranch_execz .LBB15_43
; %bb.42:
	v_bcnt_u32_b32 v29, v30, 0
	v_bcnt_u32_b32 v29, v31, v29
	s_waitcnt lgkmcnt(0)
	v_add_u32_e32 v29, v59, v29
	ds_write_b32 v60, v29 offset:16
.LBB15_43:
	s_or_b64 exec, exec, s[26:27]
	v_xor_b32_e32 v17, 0x7fffffff, v17
	v_not_b32_e32 v16, v16
	v_lshrrev_b64 v[30:31], s68, v[16:17]
	v_and_b32_e32 v30, s55, v30
	v_lshl_add_u32 v29, v30, 2, v30
	v_add_lshl_u32 v63, v43, v29, 2
	v_and_b32_e32 v29, 1, v30
	v_add_co_u32_e32 v31, vcc, -1, v29
	v_addc_co_u32_e64 v64, s[26:27], 0, -1, vcc
	v_cmp_ne_u32_e32 vcc, 0, v29
	v_xor_b32_e32 v29, vcc_hi, v64
	v_and_b32_e32 v64, exec_hi, v29
	v_lshlrev_b32_e32 v29, 30, v30
	v_xor_b32_e32 v31, vcc_lo, v31
	v_cmp_gt_i64_e32 vcc, 0, v[28:29]
	v_not_b32_e32 v29, v29
	v_ashrrev_i32_e32 v29, 31, v29
	v_and_b32_e32 v31, exec_lo, v31
	v_xor_b32_e32 v65, vcc_hi, v29
	v_xor_b32_e32 v29, vcc_lo, v29
	v_and_b32_e32 v31, v31, v29
	v_lshlrev_b32_e32 v29, 29, v30
	v_cmp_gt_i64_e32 vcc, 0, v[28:29]
	v_not_b32_e32 v29, v29
	v_ashrrev_i32_e32 v29, 31, v29
	v_and_b32_e32 v64, v64, v65
	v_xor_b32_e32 v65, vcc_hi, v29
	v_xor_b32_e32 v29, vcc_lo, v29
	v_and_b32_e32 v31, v31, v29
	v_lshlrev_b32_e32 v29, 28, v30
	v_cmp_gt_i64_e32 vcc, 0, v[28:29]
	v_not_b32_e32 v29, v29
	v_ashrrev_i32_e32 v29, 31, v29
	v_and_b32_e32 v64, v64, v65
	v_xor_b32_e32 v65, vcc_hi, v29
	v_xor_b32_e32 v29, vcc_lo, v29
	v_and_b32_e32 v31, v31, v29
	v_lshlrev_b32_e32 v29, 27, v30
	v_cmp_gt_i64_e32 vcc, 0, v[28:29]
	v_not_b32_e32 v29, v29
	v_ashrrev_i32_e32 v29, 31, v29
	v_and_b32_e32 v64, v64, v65
	v_xor_b32_e32 v65, vcc_hi, v29
	v_xor_b32_e32 v29, vcc_lo, v29
	v_and_b32_e32 v31, v31, v29
	v_lshlrev_b32_e32 v29, 26, v30
	v_cmp_gt_i64_e32 vcc, 0, v[28:29]
	v_not_b32_e32 v29, v29
	v_ashrrev_i32_e32 v29, 31, v29
	v_and_b32_e32 v64, v64, v65
	v_xor_b32_e32 v65, vcc_hi, v29
	v_xor_b32_e32 v29, vcc_lo, v29
	v_and_b32_e32 v31, v31, v29
	v_lshlrev_b32_e32 v29, 25, v30
	v_cmp_gt_i64_e32 vcc, 0, v[28:29]
	v_not_b32_e32 v29, v29
	v_ashrrev_i32_e32 v29, 31, v29
	v_and_b32_e32 v64, v64, v65
	v_xor_b32_e32 v65, vcc_hi, v29
	v_xor_b32_e32 v29, vcc_lo, v29
	v_and_b32_e32 v31, v31, v29
	v_lshlrev_b32_e32 v29, 24, v30
	v_cmp_gt_i64_e32 vcc, 0, v[28:29]
	v_not_b32_e32 v28, v29
	v_ashrrev_i32_e32 v28, 31, v28
	v_xor_b32_e32 v29, vcc_hi, v28
	v_xor_b32_e32 v28, vcc_lo, v28
	; wave barrier
	ds_read_b32 v62, v63 offset:16
	v_and_b32_e32 v64, v64, v65
	v_and_b32_e32 v28, v31, v28
	;; [unrolled: 1-line block ×3, first 2 shown]
	v_mbcnt_lo_u32_b32 v30, v28, 0
	v_mbcnt_hi_u32_b32 v64, v29, v30
	v_cmp_eq_u32_e32 vcc, 0, v64
	v_cmp_ne_u64_e64 s[26:27], 0, v[28:29]
	s_and_b64 s[28:29], s[26:27], vcc
	; wave barrier
	s_and_saveexec_b64 s[26:27], s[28:29]
	s_cbranch_execz .LBB15_45
; %bb.44:
	v_bcnt_u32_b32 v28, v28, 0
	v_bcnt_u32_b32 v28, v29, v28
	s_waitcnt lgkmcnt(0)
	v_add_u32_e32 v28, v62, v28
	ds_write_b32 v63, v28 offset:16
.LBB15_45:
	s_or_b64 exec, exec, s[26:27]
	v_xor_b32_e32 v13, 0x7fffffff, v13
	v_not_b32_e32 v12, v12
	v_lshrrev_b64 v[28:29], s68, v[12:13]
	v_and_b32_e32 v28, s55, v28
	v_lshl_add_u32 v29, v28, 2, v28
	v_add_lshl_u32 v66, v43, v29, 2
	v_and_b32_e32 v29, 1, v28
	v_add_co_u32_e32 v31, vcc, -1, v29
	v_addc_co_u32_e64 v67, s[26:27], 0, -1, vcc
	v_cmp_ne_u32_e32 vcc, 0, v29
	v_xor_b32_e32 v31, vcc_lo, v31
	v_mov_b32_e32 v30, 0
	v_xor_b32_e32 v29, vcc_hi, v67
	v_and_b32_e32 v67, exec_lo, v31
	v_lshlrev_b32_e32 v31, 30, v28
	v_cmp_gt_i64_e32 vcc, 0, v[30:31]
	v_not_b32_e32 v31, v31
	v_ashrrev_i32_e32 v31, 31, v31
	v_xor_b32_e32 v68, vcc_hi, v31
	v_xor_b32_e32 v31, vcc_lo, v31
	v_and_b32_e32 v67, v67, v31
	v_lshlrev_b32_e32 v31, 29, v28
	v_cmp_gt_i64_e32 vcc, 0, v[30:31]
	v_not_b32_e32 v31, v31
	v_and_b32_e32 v29, exec_hi, v29
	v_ashrrev_i32_e32 v31, 31, v31
	v_and_b32_e32 v29, v29, v68
	v_xor_b32_e32 v68, vcc_hi, v31
	v_xor_b32_e32 v31, vcc_lo, v31
	v_and_b32_e32 v67, v67, v31
	v_lshlrev_b32_e32 v31, 28, v28
	v_cmp_gt_i64_e32 vcc, 0, v[30:31]
	v_not_b32_e32 v31, v31
	v_ashrrev_i32_e32 v31, 31, v31
	v_and_b32_e32 v29, v29, v68
	v_xor_b32_e32 v68, vcc_hi, v31
	v_xor_b32_e32 v31, vcc_lo, v31
	v_and_b32_e32 v67, v67, v31
	v_lshlrev_b32_e32 v31, 27, v28
	v_cmp_gt_i64_e32 vcc, 0, v[30:31]
	v_not_b32_e32 v31, v31
	;; [unrolled: 8-line block ×4, first 2 shown]
	v_ashrrev_i32_e32 v31, 31, v31
	v_and_b32_e32 v29, v29, v68
	v_xor_b32_e32 v68, vcc_hi, v31
	v_xor_b32_e32 v31, vcc_lo, v31
	v_and_b32_e32 v67, v67, v31
	v_lshlrev_b32_e32 v31, 24, v28
	v_not_b32_e32 v28, v31
	v_cmp_gt_i64_e32 vcc, 0, v[30:31]
	v_ashrrev_i32_e32 v28, 31, v28
	v_xor_b32_e32 v31, vcc_hi, v28
	v_xor_b32_e32 v28, vcc_lo, v28
	; wave barrier
	ds_read_b32 v65, v66 offset:16
	v_and_b32_e32 v29, v29, v68
	v_and_b32_e32 v28, v67, v28
	;; [unrolled: 1-line block ×3, first 2 shown]
	v_mbcnt_lo_u32_b32 v31, v28, 0
	v_mbcnt_hi_u32_b32 v67, v29, v31
	v_cmp_eq_u32_e32 vcc, 0, v67
	v_cmp_ne_u64_e64 s[26:27], 0, v[28:29]
	s_and_b64 s[28:29], s[26:27], vcc
	; wave barrier
	s_and_saveexec_b64 s[26:27], s[28:29]
	s_cbranch_execz .LBB15_47
; %bb.46:
	v_bcnt_u32_b32 v28, v28, 0
	v_bcnt_u32_b32 v28, v29, v28
	s_waitcnt lgkmcnt(0)
	v_add_u32_e32 v28, v65, v28
	ds_write_b32 v66, v28 offset:16
.LBB15_47:
	s_or_b64 exec, exec, s[26:27]
	v_xor_b32_e32 v29, 0x7fffffff, v5
	v_not_b32_e32 v28, v4
	v_lshrrev_b64 v[4:5], s68, v[28:29]
	v_and_b32_e32 v4, s55, v4
	v_lshl_add_u32 v5, v4, 2, v4
	v_add_lshl_u32 v68, v43, v5, 2
	v_and_b32_e32 v5, 1, v4
	v_add_co_u32_e32 v31, vcc, -1, v5
	v_addc_co_u32_e64 v70, s[26:27], 0, -1, vcc
	v_cmp_ne_u32_e32 vcc, 0, v5
	v_xor_b32_e32 v31, vcc_lo, v31
	v_xor_b32_e32 v5, vcc_hi, v70
	v_and_b32_e32 v70, exec_lo, v31
	v_lshlrev_b32_e32 v31, 30, v4
	v_cmp_gt_i64_e32 vcc, 0, v[30:31]
	v_not_b32_e32 v31, v31
	v_ashrrev_i32_e32 v31, 31, v31
	v_xor_b32_e32 v71, vcc_hi, v31
	v_xor_b32_e32 v31, vcc_lo, v31
	v_and_b32_e32 v70, v70, v31
	v_lshlrev_b32_e32 v31, 29, v4
	v_cmp_gt_i64_e32 vcc, 0, v[30:31]
	v_not_b32_e32 v31, v31
	v_and_b32_e32 v5, exec_hi, v5
	v_ashrrev_i32_e32 v31, 31, v31
	v_and_b32_e32 v5, v5, v71
	v_xor_b32_e32 v71, vcc_hi, v31
	v_xor_b32_e32 v31, vcc_lo, v31
	v_and_b32_e32 v70, v70, v31
	v_lshlrev_b32_e32 v31, 28, v4
	v_cmp_gt_i64_e32 vcc, 0, v[30:31]
	v_not_b32_e32 v31, v31
	v_ashrrev_i32_e32 v31, 31, v31
	v_and_b32_e32 v5, v5, v71
	v_xor_b32_e32 v71, vcc_hi, v31
	v_xor_b32_e32 v31, vcc_lo, v31
	v_and_b32_e32 v70, v70, v31
	v_lshlrev_b32_e32 v31, 27, v4
	v_cmp_gt_i64_e32 vcc, 0, v[30:31]
	v_not_b32_e32 v31, v31
	;; [unrolled: 8-line block ×4, first 2 shown]
	v_ashrrev_i32_e32 v31, 31, v31
	v_and_b32_e32 v5, v5, v71
	v_xor_b32_e32 v71, vcc_hi, v31
	v_xor_b32_e32 v31, vcc_lo, v31
	v_and_b32_e32 v70, v70, v31
	v_lshlrev_b32_e32 v31, 24, v4
	v_not_b32_e32 v4, v31
	v_cmp_gt_i64_e32 vcc, 0, v[30:31]
	v_ashrrev_i32_e32 v4, 31, v4
	v_xor_b32_e32 v30, vcc_hi, v4
	v_xor_b32_e32 v4, vcc_lo, v4
	; wave barrier
	ds_read_b32 v43, v68 offset:16
	v_and_b32_e32 v5, v5, v71
	v_and_b32_e32 v4, v70, v4
	v_and_b32_e32 v5, v5, v30
	v_mbcnt_lo_u32_b32 v30, v4, 0
	v_mbcnt_hi_u32_b32 v70, v5, v30
	v_cmp_eq_u32_e32 vcc, 0, v70
	v_cmp_ne_u64_e64 s[26:27], 0, v[4:5]
	v_add_u32_e32 v69, 16, v34
	s_and_b64 s[28:29], s[26:27], vcc
	; wave barrier
	s_and_saveexec_b64 s[26:27], s[28:29]
	s_cbranch_execz .LBB15_49
; %bb.48:
	v_bcnt_u32_b32 v4, v4, 0
	v_bcnt_u32_b32 v4, v5, v4
	s_waitcnt lgkmcnt(0)
	v_add_u32_e32 v4, v43, v4
	ds_write_b32 v68, v4 offset:16
.LBB15_49:
	s_or_b64 exec, exec, s[26:27]
	; wave barrier
	s_waitcnt lgkmcnt(0)
	s_barrier
	ds_read2_b32 v[30:31], v34 offset0:4 offset1:5
	ds_read2_b32 v[4:5], v69 offset0:2 offset1:3
	ds_read_b32 v71, v69 offset:16
	v_min_u32_e32 v3, 0xc0, v3
	v_or_b32_e32 v3, 63, v3
	s_waitcnt lgkmcnt(1)
	v_add3_u32 v72, v31, v30, v4
	s_waitcnt lgkmcnt(0)
	v_add3_u32 v71, v72, v5, v71
	v_and_b32_e32 v72, 15, v32
	v_cmp_ne_u32_e32 vcc, 0, v72
	v_mov_b32_dpp v73, v71 row_shr:1 row_mask:0xf bank_mask:0xf
	v_cndmask_b32_e32 v73, 0, v73, vcc
	v_add_u32_e32 v71, v73, v71
	v_cmp_lt_u32_e32 vcc, 1, v72
	s_nop 0
	v_mov_b32_dpp v73, v71 row_shr:2 row_mask:0xf bank_mask:0xf
	v_cndmask_b32_e32 v73, 0, v73, vcc
	v_add_u32_e32 v71, v71, v73
	v_cmp_lt_u32_e32 vcc, 3, v72
	s_nop 0
	;; [unrolled: 5-line block ×3, first 2 shown]
	v_mov_b32_dpp v73, v71 row_shr:8 row_mask:0xf bank_mask:0xf
	v_cndmask_b32_e32 v72, 0, v73, vcc
	v_add_u32_e32 v71, v71, v72
	v_bfe_i32 v73, v32, 4, 1
	v_cmp_lt_u32_e32 vcc, 31, v32
	v_mov_b32_dpp v72, v71 row_bcast:15 row_mask:0xf bank_mask:0xf
	v_and_b32_e32 v72, v73, v72
	v_add_u32_e32 v71, v71, v72
	s_nop 1
	v_mov_b32_dpp v72, v71 row_bcast:31 row_mask:0xf bank_mask:0xf
	v_cndmask_b32_e32 v72, 0, v72, vcc
	v_add_u32_e32 v71, v71, v72
	v_lshrrev_b32_e32 v72, 6, v2
	v_cmp_eq_u32_e32 vcc, v3, v2
	s_and_saveexec_b64 s[26:27], vcc
	s_cbranch_execz .LBB15_51
; %bb.50:
	v_lshlrev_b32_e32 v3, 2, v72
	ds_write_b32 v3, v71
.LBB15_51:
	s_or_b64 exec, exec, s[26:27]
	v_cmp_gt_u32_e32 vcc, 4, v2
	s_waitcnt lgkmcnt(0)
	s_barrier
	s_and_saveexec_b64 s[26:27], vcc
	s_cbranch_execz .LBB15_53
; %bb.52:
	v_lshlrev_b32_e32 v3, 2, v2
	ds_read_b32 v73, v3
	v_and_b32_e32 v74, 3, v32
	v_cmp_ne_u32_e32 vcc, 0, v74
	s_waitcnt lgkmcnt(0)
	v_mov_b32_dpp v75, v73 row_shr:1 row_mask:0xf bank_mask:0xf
	v_cndmask_b32_e32 v75, 0, v75, vcc
	v_add_u32_e32 v73, v75, v73
	v_cmp_lt_u32_e32 vcc, 1, v74
	s_nop 0
	v_mov_b32_dpp v75, v73 row_shr:2 row_mask:0xf bank_mask:0xf
	v_cndmask_b32_e32 v74, 0, v75, vcc
	v_add_u32_e32 v73, v73, v74
	ds_write_b32 v3, v73
.LBB15_53:
	s_or_b64 exec, exec, s[26:27]
	v_cmp_lt_u32_e32 vcc, 63, v2
	v_mov_b32_e32 v3, 0
	s_waitcnt lgkmcnt(0)
	s_barrier
	s_and_saveexec_b64 s[26:27], vcc
	s_cbranch_execz .LBB15_55
; %bb.54:
	v_lshl_add_u32 v3, v72, 2, -4
	ds_read_b32 v3, v3
.LBB15_55:
	s_or_b64 exec, exec, s[26:27]
	v_add_u32_e32 v72, -1, v32
	v_and_b32_e32 v73, 64, v32
	v_cmp_lt_i32_e32 vcc, v72, v73
	v_cndmask_b32_e32 v72, v72, v32, vcc
	s_waitcnt lgkmcnt(0)
	v_add_u32_e32 v71, v3, v71
	v_lshlrev_b32_e32 v72, 2, v72
	ds_bpermute_b32 v71, v72, v71
	v_cmp_eq_u32_e32 vcc, 0, v32
	s_movk_i32 s26, 0x100
	s_waitcnt lgkmcnt(0)
	v_cndmask_b32_e32 v3, v71, v3, vcc
	v_cmp_ne_u32_e32 vcc, 0, v2
	v_cndmask_b32_e32 v3, 0, v3, vcc
	v_add_u32_e32 v30, v3, v30
	v_add_u32_e32 v31, v30, v31
	;; [unrolled: 1-line block ×4, first 2 shown]
	ds_write2_b32 v34, v3, v30 offset0:4 offset1:5
	ds_write2_b32 v69, v31, v4 offset0:2 offset1:3
	ds_write_b32 v69, v5 offset:16
	s_waitcnt lgkmcnt(0)
	s_barrier
	ds_read_b32 v5, v38 offset:16
	ds_read_b32 v38, v41 offset:16
	;; [unrolled: 1-line block ×13, first 2 shown]
	v_add_u32_e32 v31, 1, v2
	v_cmp_ne_u32_e32 vcc, s26, v31
	v_mov_b32_e32 v3, 0xc00
	s_and_saveexec_b64 s[26:27], vcc
	s_cbranch_execz .LBB15_57
; %bb.56:
	v_mul_u32_u24_e32 v3, 5, v31
	v_lshlrev_b32_e32 v3, 2, v3
	ds_read_b32 v3, v3 offset:16
.LBB15_57:
	s_or_b64 exec, exec, s[26:27]
	s_waitcnt lgkmcnt(1)
	v_add_u32_e32 v30, v30, v35
	v_add3_u32 v31, v39, v37, v5
	v_lshlrev_b32_e32 v5, 3, v30
	v_add3_u32 v34, v42, v40, v38
	s_waitcnt lgkmcnt(0)
	s_barrier
	ds_write_b64 v5, v[6:7] offset:2048
	v_lshlrev_b32_e32 v5, 3, v31
	v_add3_u32 v35, v46, v44, v41
	ds_write_b64 v5, v[8:9] offset:2048
	v_lshlrev_b32_e32 v5, 3, v34
	v_add3_u32 v36, v49, v47, v45
	;; [unrolled: 3-line block ×8, first 2 shown]
	ds_write_b64 v5, v[20:21] offset:2048
	v_lshlrev_b32_e32 v5, 3, v41
	v_lshl_add_u32 v6, s6, 8, v2
	v_mov_b32_e32 v7, 0
	v_add3_u32 v43, v70, v43, v66
	ds_write_b64 v5, v[16:17] offset:2048
	v_lshlrev_b32_e32 v5, 3, v42
	v_lshlrev_b64 v[8:9], 2, v[6:7]
	ds_write_b64 v5, v[12:13] offset:2048
	v_lshlrev_b32_e32 v5, 3, v43
	v_sub_u32_e32 v12, v3, v4
	v_mov_b32_e32 v3, s73
	v_add_co_u32_e32 v8, vcc, s72, v8
	ds_write_b64 v5, v[28:29] offset:2048
	v_addc_co_u32_e32 v9, vcc, v3, v9, vcc
	v_or_b32_e32 v5, 2.0, v12
	s_waitcnt lgkmcnt(0)
	s_barrier
	global_store_dword v[8:9], v5, off
	s_mov_b64 s[26:27], 0
	s_brev_b32 s34, 1
	s_mov_b32 s35, s7
	v_mov_b32_e32 v5, 0
                                        ; implicit-def: $sgpr28_sgpr29
	s_branch .LBB15_59
.LBB15_58:                              ;   in Loop: Header=BB15_59 Depth=1
	s_or_b64 exec, exec, s[28:29]
	v_and_b32_e32 v10, 0x3fffffff, v13
	v_add_u32_e32 v5, v10, v5
	v_cmp_eq_u32_e64 s[28:29], s34, v6
	s_and_b64 s[30:31], exec, s[28:29]
	s_or_b64 s[26:27], s[30:31], s[26:27]
	s_andn2_b64 exec, exec, s[26:27]
	s_cbranch_execz .LBB15_65
.LBB15_59:                              ; =>This Loop Header: Depth=1
                                        ;     Child Loop BB15_62 Depth 2
	s_or_b64 s[28:29], s[28:29], exec
	s_cmp_eq_u32 s35, 0
	s_cbranch_scc1 .LBB15_64
; %bb.60:                               ;   in Loop: Header=BB15_59 Depth=1
	s_add_i32 s35, s35, -1
	v_lshl_add_u32 v6, s35, 8, v2
	v_lshlrev_b64 v[10:11], 2, v[6:7]
	v_add_co_u32_e32 v10, vcc, s72, v10
	v_addc_co_u32_e32 v11, vcc, v3, v11, vcc
	global_load_dword v13, v[10:11], off glc
	s_waitcnt vmcnt(0)
	v_and_b32_e32 v6, -2.0, v13
	v_cmp_eq_u32_e32 vcc, 0, v6
	s_and_saveexec_b64 s[28:29], vcc
	s_cbranch_execz .LBB15_58
; %bb.61:                               ;   in Loop: Header=BB15_59 Depth=1
	s_mov_b64 s[30:31], 0
.LBB15_62:                              ;   Parent Loop BB15_59 Depth=1
                                        ; =>  This Inner Loop Header: Depth=2
	global_load_dword v13, v[10:11], off glc
	s_waitcnt vmcnt(0)
	v_and_b32_e32 v6, -2.0, v13
	v_cmp_ne_u32_e32 vcc, 0, v6
	s_or_b64 s[30:31], vcc, s[30:31]
	s_andn2_b64 exec, exec, s[30:31]
	s_cbranch_execnz .LBB15_62
; %bb.63:                               ;   in Loop: Header=BB15_59 Depth=1
	s_or_b64 exec, exec, s[30:31]
	s_branch .LBB15_58
.LBB15_64:                              ;   in Loop: Header=BB15_59 Depth=1
                                        ; implicit-def: $sgpr35
	s_and_b64 s[30:31], exec, s[28:29]
	s_or_b64 s[26:27], s[30:31], s[26:27]
	s_andn2_b64 exec, exec, s[26:27]
	s_cbranch_execnz .LBB15_59
.LBB15_65:
	s_or_b64 exec, exec, s[26:27]
	v_add_u32_e32 v3, v5, v12
	v_or_b32_e32 v3, 0x80000000, v3
	global_store_dword v[8:9], v3, off
	v_lshlrev_b32_e32 v8, 3, v2
	global_load_dwordx2 v[6:7], v8, s[64:65]
	v_sub_co_u32_e32 v9, vcc, v5, v4
	v_subb_co_u32_e64 v10, s[26:27], 0, 0, vcc
	v_mov_b32_e32 v3, 0
	v_mov_b32_e32 v5, v3
	s_waitcnt vmcnt(0)
	v_add_co_u32_e32 v6, vcc, v9, v6
	v_addc_co_u32_e32 v7, vcc, v10, v7, vcc
	v_cmp_gt_u32_e32 vcc, s70, v2
	ds_write_b64 v8, v[6:7]
	s_waitcnt lgkmcnt(0)
	s_barrier
	s_and_saveexec_b64 s[28:29], vcc
	s_cbranch_execz .LBB15_67
; %bb.66:
	ds_read_b64 v[6:7], v8 offset:2048
	s_waitcnt lgkmcnt(0)
	v_lshrrev_b64 v[10:11], s68, v[6:7]
	v_and_b32_e32 v9, s55, v10
	v_lshlrev_b32_e32 v9, 3, v9
	ds_read_b64 v[10:11], v9
	v_mov_b32_e32 v9, s59
	v_xor_b32_e32 v7, 0x7fffffff, v7
	v_not_b32_e32 v6, v6
	s_waitcnt lgkmcnt(0)
	v_lshlrev_b64 v[10:11], 3, v[10:11]
	v_add_co_u32_e64 v10, s[26:27], s58, v10
	v_addc_co_u32_e64 v9, s[26:27], v9, v11, s[26:27]
	v_add_co_u32_e64 v10, s[26:27], v10, v8
	v_addc_co_u32_e64 v11, s[26:27], 0, v9, s[26:27]
	global_store_dwordx2 v[10:11], v[6:7], off
.LBB15_67:
	s_or_b64 exec, exec, s[28:29]
	v_add_u32_e32 v6, 0x100, v2
	v_cmp_gt_u32_e64 s[26:27], s70, v6
	s_and_saveexec_b64 s[30:31], s[26:27]
	s_cbranch_execz .LBB15_69
; %bb.68:
	v_lshlrev_b32_e32 v9, 3, v2
	ds_read_b64 v[6:7], v9 offset:4096
	v_mov_b32_e32 v13, s59
	s_waitcnt lgkmcnt(0)
	v_lshrrev_b64 v[10:11], s68, v[6:7]
	v_and_b32_e32 v10, s55, v10
	v_lshlrev_b32_e32 v10, 3, v10
	ds_read_b64 v[10:11], v10
	v_xor_b32_e32 v7, 0x7fffffff, v7
	v_not_b32_e32 v6, v6
	s_waitcnt lgkmcnt(0)
	v_lshlrev_b64 v[10:11], 3, v[10:11]
	v_add_co_u32_e64 v10, s[28:29], s58, v10
	v_addc_co_u32_e64 v11, s[28:29], v13, v11, s[28:29]
	v_add_co_u32_e64 v10, s[28:29], v10, v9
	v_addc_co_u32_e64 v11, s[28:29], 0, v11, s[28:29]
	global_store_dwordx2 v[10:11], v[6:7], off offset:2048
.LBB15_69:
	s_or_b64 exec, exec, s[30:31]
	v_add_u32_e32 v6, 0x200, v2
	v_cmp_gt_u32_e64 s[28:29], s70, v6
	s_and_saveexec_b64 s[34:35], s[28:29]
	s_cbranch_execz .LBB15_71
; %bb.70:
	v_lshlrev_b32_e32 v7, 3, v2
	ds_read_b64 v[10:11], v7 offset:6144
	v_lshlrev_b32_e32 v13, 3, v6
	v_mov_b32_e32 v9, s59
	s_waitcnt lgkmcnt(0)
	v_lshrrev_b64 v[14:15], s68, v[10:11]
	v_and_b32_e32 v7, s55, v14
	v_lshlrev_b32_e32 v7, 3, v7
	ds_read_b64 v[14:15], v7
	v_xor_b32_e32 v7, 0x7fffffff, v11
	v_not_b32_e32 v6, v10
	s_waitcnt lgkmcnt(0)
	v_lshlrev_b64 v[10:11], 3, v[14:15]
	v_add_co_u32_e64 v10, s[30:31], s58, v10
	v_addc_co_u32_e64 v9, s[30:31], v9, v11, s[30:31]
	v_add_co_u32_e64 v10, s[30:31], v10, v13
	v_addc_co_u32_e64 v11, s[30:31], 0, v9, s[30:31]
	global_store_dwordx2 v[10:11], v[6:7], off
.LBB15_71:
	s_or_b64 exec, exec, s[34:35]
	v_add_u32_e32 v6, 0x300, v2
	v_cmp_gt_u32_e64 s[30:31], s70, v6
	s_and_saveexec_b64 s[36:37], s[30:31]
	s_cbranch_execz .LBB15_73
; %bb.72:
	v_lshlrev_b32_e32 v7, 3, v2
	ds_read_b64 v[10:11], v7 offset:8192
	v_lshlrev_b32_e32 v13, 3, v6
	v_mov_b32_e32 v9, s59
	s_waitcnt lgkmcnt(0)
	v_lshrrev_b64 v[14:15], s68, v[10:11]
	v_and_b32_e32 v7, s55, v14
	v_lshlrev_b32_e32 v7, 3, v7
	ds_read_b64 v[14:15], v7
	v_xor_b32_e32 v7, 0x7fffffff, v11
	v_not_b32_e32 v6, v10
	s_waitcnt lgkmcnt(0)
	v_lshlrev_b64 v[10:11], 3, v[14:15]
	v_add_co_u32_e64 v10, s[34:35], s58, v10
	v_addc_co_u32_e64 v9, s[34:35], v9, v11, s[34:35]
	v_add_co_u32_e64 v10, s[34:35], v10, v13
	v_addc_co_u32_e64 v11, s[34:35], 0, v9, s[34:35]
	global_store_dwordx2 v[10:11], v[6:7], off
.LBB15_73:
	s_or_b64 exec, exec, s[36:37]
	v_or_b32_e32 v6, 0x400, v2
	v_cmp_gt_u32_e64 s[34:35], s70, v6
	s_and_saveexec_b64 s[38:39], s[34:35]
	s_cbranch_execz .LBB15_75
; %bb.74:
	v_lshlrev_b32_e32 v7, 3, v2
	ds_read_b64 v[10:11], v7 offset:10240
	v_lshlrev_b32_e32 v13, 3, v6
	v_mov_b32_e32 v9, s59
	s_waitcnt lgkmcnt(0)
	v_lshrrev_b64 v[14:15], s68, v[10:11]
	v_and_b32_e32 v7, s55, v14
	v_lshlrev_b32_e32 v7, 3, v7
	ds_read_b64 v[14:15], v7
	v_xor_b32_e32 v7, 0x7fffffff, v11
	v_not_b32_e32 v6, v10
	s_waitcnt lgkmcnt(0)
	v_lshlrev_b64 v[10:11], 3, v[14:15]
	v_add_co_u32_e64 v10, s[36:37], s58, v10
	v_addc_co_u32_e64 v9, s[36:37], v9, v11, s[36:37]
	v_add_co_u32_e64 v10, s[36:37], v10, v13
	v_addc_co_u32_e64 v11, s[36:37], 0, v9, s[36:37]
	global_store_dwordx2 v[10:11], v[6:7], off
.LBB15_75:
	s_or_b64 exec, exec, s[38:39]
	v_add_u32_e32 v6, 0x500, v2
	v_cmp_gt_u32_e64 s[36:37], s70, v6
	s_and_saveexec_b64 s[40:41], s[36:37]
	s_cbranch_execz .LBB15_77
; %bb.76:
	v_lshlrev_b32_e32 v7, 3, v2
	ds_read_b64 v[10:11], v7 offset:12288
	v_lshlrev_b32_e32 v13, 3, v6
	v_mov_b32_e32 v9, s59
	s_waitcnt lgkmcnt(0)
	v_lshrrev_b64 v[14:15], s68, v[10:11]
	v_and_b32_e32 v7, s55, v14
	v_lshlrev_b32_e32 v7, 3, v7
	ds_read_b64 v[14:15], v7
	v_xor_b32_e32 v7, 0x7fffffff, v11
	v_not_b32_e32 v6, v10
	s_waitcnt lgkmcnt(0)
	v_lshlrev_b64 v[10:11], 3, v[14:15]
	v_add_co_u32_e64 v10, s[38:39], s58, v10
	v_addc_co_u32_e64 v9, s[38:39], v9, v11, s[38:39]
	v_add_co_u32_e64 v10, s[38:39], v10, v13
	v_addc_co_u32_e64 v11, s[38:39], 0, v9, s[38:39]
	global_store_dwordx2 v[10:11], v[6:7], off
.LBB15_77:
	s_or_b64 exec, exec, s[40:41]
	v_add_u32_e32 v6, 0x600, v2
	;; [unrolled: 25-line block ×3, first 2 shown]
	v_cmp_gt_u32_e64 s[40:41], s70, v6
	s_and_saveexec_b64 s[44:45], s[40:41]
	s_cbranch_execz .LBB15_81
; %bb.80:
	v_lshlrev_b32_e32 v7, 3, v2
	ds_read_b64 v[10:11], v7 offset:16384
	v_lshlrev_b32_e32 v13, 3, v6
	v_mov_b32_e32 v9, s59
	s_waitcnt lgkmcnt(0)
	v_lshrrev_b64 v[14:15], s68, v[10:11]
	v_and_b32_e32 v7, s55, v14
	v_lshlrev_b32_e32 v7, 3, v7
	ds_read_b64 v[14:15], v7
	v_xor_b32_e32 v7, 0x7fffffff, v11
	v_not_b32_e32 v6, v10
	s_waitcnt lgkmcnt(0)
	v_lshlrev_b64 v[10:11], 3, v[14:15]
	v_add_co_u32_e64 v10, s[42:43], s58, v10
	v_addc_co_u32_e64 v9, s[42:43], v9, v11, s[42:43]
	v_add_co_u32_e64 v10, s[42:43], v10, v13
	v_addc_co_u32_e64 v11, s[42:43], 0, v9, s[42:43]
	global_store_dwordx2 v[10:11], v[6:7], off
.LBB15_81:
	s_or_b64 exec, exec, s[44:45]
	v_or_b32_e32 v6, 0x800, v2
	v_cmp_gt_u32_e64 s[42:43], s70, v6
	s_and_saveexec_b64 s[46:47], s[42:43]
	s_cbranch_execz .LBB15_83
; %bb.82:
	v_lshlrev_b32_e32 v7, 3, v2
	ds_read_b64 v[10:11], v7 offset:18432
	v_lshlrev_b32_e32 v13, 3, v6
	v_mov_b32_e32 v9, s59
	s_waitcnt lgkmcnt(0)
	v_lshrrev_b64 v[14:15], s68, v[10:11]
	v_and_b32_e32 v7, s55, v14
	v_lshlrev_b32_e32 v7, 3, v7
	ds_read_b64 v[14:15], v7
	v_xor_b32_e32 v7, 0x7fffffff, v11
	v_not_b32_e32 v6, v10
	s_waitcnt lgkmcnt(0)
	v_lshlrev_b64 v[10:11], 3, v[14:15]
	v_add_co_u32_e64 v10, s[44:45], s58, v10
	v_addc_co_u32_e64 v9, s[44:45], v9, v11, s[44:45]
	v_add_co_u32_e64 v10, s[44:45], v10, v13
	v_addc_co_u32_e64 v11, s[44:45], 0, v9, s[44:45]
	global_store_dwordx2 v[10:11], v[6:7], off
.LBB15_83:
	s_or_b64 exec, exec, s[46:47]
	v_add_u32_e32 v6, 0x900, v2
	v_cmp_gt_u32_e64 s[44:45], s70, v6
	s_and_saveexec_b64 s[48:49], s[44:45]
	s_cbranch_execz .LBB15_85
; %bb.84:
	v_lshlrev_b32_e32 v7, 3, v2
	ds_read_b64 v[10:11], v7 offset:20480
	v_lshlrev_b32_e32 v13, 3, v6
	v_mov_b32_e32 v9, s59
	s_waitcnt lgkmcnt(0)
	v_lshrrev_b64 v[14:15], s68, v[10:11]
	v_and_b32_e32 v7, s55, v14
	v_lshlrev_b32_e32 v7, 3, v7
	ds_read_b64 v[14:15], v7
	v_xor_b32_e32 v7, 0x7fffffff, v11
	v_not_b32_e32 v6, v10
	s_waitcnt lgkmcnt(0)
	v_lshlrev_b64 v[10:11], 3, v[14:15]
	v_add_co_u32_e64 v10, s[46:47], s58, v10
	v_addc_co_u32_e64 v9, s[46:47], v9, v11, s[46:47]
	v_add_co_u32_e64 v10, s[46:47], v10, v13
	v_addc_co_u32_e64 v11, s[46:47], 0, v9, s[46:47]
	global_store_dwordx2 v[10:11], v[6:7], off
.LBB15_85:
	s_or_b64 exec, exec, s[48:49]
	v_add_u32_e32 v6, 0xa00, v2
	;; [unrolled: 25-line block ×3, first 2 shown]
	v_cmp_gt_u32_e64 s[48:49], s70, v6
	s_and_saveexec_b64 s[70:71], s[48:49]
	s_cbranch_execz .LBB15_89
; %bb.88:
	v_lshlrev_b32_e32 v7, 3, v2
	ds_read_b64 v[10:11], v7 offset:24576
	v_lshlrev_b32_e32 v13, 3, v6
	v_mov_b32_e32 v9, s59
	s_waitcnt lgkmcnt(0)
	v_lshrrev_b64 v[14:15], s68, v[10:11]
	v_and_b32_e32 v7, s55, v14
	v_lshlrev_b32_e32 v7, 3, v7
	ds_read_b64 v[14:15], v7
	v_xor_b32_e32 v7, 0x7fffffff, v11
	v_not_b32_e32 v6, v10
	s_waitcnt lgkmcnt(0)
	v_lshlrev_b64 v[10:11], 3, v[14:15]
	v_add_co_u32_e64 v10, s[52:53], s58, v10
	v_addc_co_u32_e64 v9, s[52:53], v9, v11, s[52:53]
	v_add_co_u32_e64 v10, s[52:53], v10, v13
	v_addc_co_u32_e64 v11, s[52:53], 0, v9, s[52:53]
	global_store_dwordx2 v[10:11], v[6:7], off
.LBB15_89:
	s_or_b64 exec, exec, s[70:71]
	s_add_u32 s52, s60, s54
	s_addc_u32 s53, s61, 0
	v_mov_b32_e32 v6, s53
	v_add_co_u32_e64 v7, s[52:53], s52, v32
	v_addc_co_u32_e64 v9, s[52:53], 0, v6, s[52:53]
	v_add_co_u32_e64 v6, s[52:53], v7, v33
	v_addc_co_u32_e64 v7, s[52:53], 0, v9, s[52:53]
                                        ; implicit-def: $vgpr9
	s_and_saveexec_b64 s[52:53], s[0:1]
	s_xor_b64 s[0:1], exec, s[52:53]
	s_cbranch_execnz .LBB15_174
; %bb.90:
	s_or_b64 exec, exec, s[0:1]
                                        ; implicit-def: $vgpr10
	s_and_saveexec_b64 s[0:1], s[2:3]
	s_cbranch_execnz .LBB15_175
.LBB15_91:
	s_or_b64 exec, exec, s[0:1]
                                        ; implicit-def: $vgpr11
	s_and_saveexec_b64 s[0:1], s[50:51]
	s_cbranch_execnz .LBB15_176
.LBB15_92:
	s_or_b64 exec, exec, s[0:1]
                                        ; implicit-def: $vgpr13
	s_and_saveexec_b64 s[0:1], s[8:9]
	s_cbranch_execnz .LBB15_177
.LBB15_93:
	s_or_b64 exec, exec, s[0:1]
                                        ; implicit-def: $vgpr14
	s_and_saveexec_b64 s[0:1], s[10:11]
	s_cbranch_execnz .LBB15_178
.LBB15_94:
	s_or_b64 exec, exec, s[0:1]
                                        ; implicit-def: $vgpr15
	s_and_saveexec_b64 s[0:1], s[12:13]
	s_cbranch_execnz .LBB15_179
.LBB15_95:
	s_or_b64 exec, exec, s[0:1]
                                        ; implicit-def: $vgpr16
	s_and_saveexec_b64 s[0:1], s[14:15]
	s_cbranch_execnz .LBB15_180
.LBB15_96:
	s_or_b64 exec, exec, s[0:1]
                                        ; implicit-def: $vgpr19
	s_and_saveexec_b64 s[0:1], s[16:17]
	s_cbranch_execnz .LBB15_181
.LBB15_97:
	s_or_b64 exec, exec, s[0:1]
                                        ; implicit-def: $vgpr21
	s_and_saveexec_b64 s[0:1], s[18:19]
	s_cbranch_execnz .LBB15_182
.LBB15_98:
	s_or_b64 exec, exec, s[0:1]
                                        ; implicit-def: $vgpr24
	s_and_saveexec_b64 s[0:1], s[20:21]
	s_cbranch_execnz .LBB15_183
.LBB15_99:
	s_or_b64 exec, exec, s[0:1]
                                        ; implicit-def: $vgpr27
	s_and_saveexec_b64 s[0:1], s[22:23]
	s_cbranch_execnz .LBB15_184
.LBB15_100:
	s_or_b64 exec, exec, s[0:1]
                                        ; implicit-def: $vgpr32
	s_and_saveexec_b64 s[0:1], s[24:25]
	s_cbranch_execnz .LBB15_185
.LBB15_101:
	s_or_b64 exec, exec, s[0:1]
                                        ; implicit-def: $vgpr33
	s_and_saveexec_b64 s[0:1], vcc
	s_cbranch_execnz .LBB15_186
.LBB15_102:
	s_or_b64 exec, exec, s[0:1]
                                        ; implicit-def: $vgpr29
	s_and_saveexec_b64 s[0:1], s[26:27]
	s_cbranch_execnz .LBB15_187
.LBB15_103:
	s_or_b64 exec, exec, s[0:1]
                                        ; implicit-def: $vgpr28
	s_and_saveexec_b64 s[0:1], s[28:29]
	s_cbranch_execnz .LBB15_188
.LBB15_104:
	s_or_b64 exec, exec, s[0:1]
                                        ; implicit-def: $vgpr26
	s_and_saveexec_b64 s[0:1], s[30:31]
	s_cbranch_execnz .LBB15_189
.LBB15_105:
	s_or_b64 exec, exec, s[0:1]
                                        ; implicit-def: $vgpr25
	s_and_saveexec_b64 s[0:1], s[34:35]
	s_cbranch_execnz .LBB15_190
.LBB15_106:
	s_or_b64 exec, exec, s[0:1]
                                        ; implicit-def: $vgpr23
	s_and_saveexec_b64 s[0:1], s[36:37]
	s_cbranch_execnz .LBB15_191
.LBB15_107:
	s_or_b64 exec, exec, s[0:1]
                                        ; implicit-def: $vgpr22
	s_and_saveexec_b64 s[0:1], s[38:39]
	s_cbranch_execnz .LBB15_192
.LBB15_108:
	s_or_b64 exec, exec, s[0:1]
                                        ; implicit-def: $vgpr20
	s_and_saveexec_b64 s[0:1], s[40:41]
	s_cbranch_execnz .LBB15_193
.LBB15_109:
	s_or_b64 exec, exec, s[0:1]
                                        ; implicit-def: $vgpr18
	s_and_saveexec_b64 s[0:1], s[42:43]
	s_cbranch_execz .LBB15_111
.LBB15_110:
	v_lshlrev_b32_e32 v6, 3, v2
	ds_read_b64 v[6:7], v6 offset:18432
	s_waitcnt lgkmcnt(0)
	v_lshrrev_b64 v[6:7], s68, v[6:7]
	v_and_b32_e32 v18, s55, v6
.LBB15_111:
	s_or_b64 exec, exec, s[0:1]
	v_mov_b32_e32 v6, 0
	v_mov_b32_e32 v17, 0
	s_and_saveexec_b64 s[0:1], s[44:45]
	s_cbranch_execnz .LBB15_194
; %bb.112:
	s_or_b64 exec, exec, s[0:1]
	s_and_saveexec_b64 s[0:1], s[46:47]
	s_cbranch_execnz .LBB15_195
.LBB15_113:
	s_or_b64 exec, exec, s[0:1]
	v_mov_b32_e32 v7, 0
	s_and_saveexec_b64 s[0:1], s[48:49]
	s_cbranch_execz .LBB15_115
.LBB15_114:
	v_lshlrev_b32_e32 v7, 3, v2
	ds_read_b64 v[44:45], v7 offset:24576
	s_waitcnt lgkmcnt(0)
	v_lshrrev_b64 v[44:45], s68, v[44:45]
	v_and_b32_e32 v7, s55, v44
.LBB15_115:
	s_or_b64 exec, exec, s[0:1]
	s_barrier
	s_waitcnt vmcnt(0)
	ds_write_b8 v30, v9 offset:2048
	ds_write_b8 v31, v10 offset:2048
	;; [unrolled: 1-line block ×12, first 2 shown]
	s_waitcnt lgkmcnt(0)
	s_barrier
	s_and_saveexec_b64 s[0:1], vcc
	s_cbranch_execnz .LBB15_196
; %bb.116:
	s_or_b64 exec, exec, s[0:1]
	s_and_saveexec_b64 s[0:1], s[26:27]
	s_cbranch_execnz .LBB15_197
.LBB15_117:
	s_or_b64 exec, exec, s[0:1]
	s_and_saveexec_b64 s[0:1], s[28:29]
	s_cbranch_execnz .LBB15_198
.LBB15_118:
	s_or_b64 exec, exec, s[0:1]
	s_and_saveexec_b64 s[0:1], s[30:31]
	s_cbranch_execnz .LBB15_199
.LBB15_119:
	s_or_b64 exec, exec, s[0:1]
	s_and_saveexec_b64 s[0:1], s[34:35]
	s_cbranch_execnz .LBB15_200
.LBB15_120:
	s_or_b64 exec, exec, s[0:1]
	s_and_saveexec_b64 s[0:1], s[36:37]
	s_cbranch_execnz .LBB15_201
.LBB15_121:
	s_or_b64 exec, exec, s[0:1]
	s_and_saveexec_b64 s[0:1], s[38:39]
	s_cbranch_execnz .LBB15_202
.LBB15_122:
	s_or_b64 exec, exec, s[0:1]
	s_and_saveexec_b64 s[0:1], s[40:41]
	s_cbranch_execnz .LBB15_203
.LBB15_123:
	s_or_b64 exec, exec, s[0:1]
	s_and_saveexec_b64 s[0:1], s[42:43]
	s_cbranch_execnz .LBB15_204
.LBB15_124:
	s_or_b64 exec, exec, s[0:1]
	s_and_saveexec_b64 s[0:1], s[44:45]
	s_cbranch_execnz .LBB15_205
.LBB15_125:
	s_or_b64 exec, exec, s[0:1]
	s_and_saveexec_b64 s[0:1], s[46:47]
	s_cbranch_execnz .LBB15_206
.LBB15_126:
	s_or_b64 exec, exec, s[0:1]
	s_and_saveexec_b64 s[0:1], s[48:49]
	s_cbranch_execz .LBB15_128
.LBB15_127:
	v_lshlrev_b32_e32 v6, 3, v7
	ds_read_b64 v[6:7], v6
	ds_read_u8 v9, v2 offset:4864
	v_mov_b32_e32 v10, s63
	s_waitcnt lgkmcnt(1)
	v_add_co_u32_e32 v6, vcc, s62, v6
	v_addc_co_u32_e32 v7, vcc, v10, v7, vcc
	v_add_co_u32_e32 v6, vcc, v6, v2
	v_addc_co_u32_e32 v7, vcc, 0, v7, vcc
	s_waitcnt lgkmcnt(0)
	global_store_byte v[6:7], v9, off offset:2816
.LBB15_128:
	s_or_b64 exec, exec, s[0:1]
	s_add_i32 s33, s33, -1
	s_cmp_eq_u32 s6, s33
	s_cselect_b64 s[0:1], -1, 0
	s_branch .LBB15_171
.LBB15_129:
	s_mov_b64 s[0:1], 0
                                        ; implicit-def: $vgpr8
                                        ; implicit-def: $vgpr2_vgpr3
                                        ; implicit-def: $vgpr4_vgpr5
                                        ; implicit-def: $vgpr12
	s_cbranch_execz .LBB15_171
; %bb.130:
	s_mov_b32 s55, 0
	s_lshl_b64 s[0:1], s[54:55], 3
	v_mbcnt_hi_u32_b32 v3, -1, v1
	s_add_u32 s0, s56, s0
	v_lshlrev_b32_e32 v1, 3, v3
	v_add_co_u32_e32 v1, vcc, s0, v1
	s_load_dword s8, s[4:5], 0x50
	s_load_dword s0, s[4:5], 0x5c
	v_and_b32_e32 v2, 0x3ff, v0
	s_addc_u32 s1, s57, s1
	v_and_b32_e32 v32, 0xc0, v2
	v_mul_u32_u24_e32 v30, 12, v32
	v_mov_b32_e32 v4, s1
	v_addc_co_u32_e32 v5, vcc, 0, v4, vcc
	v_lshlrev_b32_e32 v4, 3, v30
	s_add_u32 s1, s4, 0x50
	v_add_co_u32_e32 v4, vcc, v1, v4
	s_addc_u32 s2, s5, 0
	s_waitcnt lgkmcnt(0)
	s_lshr_b32 s3, s0, 16
	v_addc_co_u32_e32 v5, vcc, 0, v5, vcc
	s_cmp_lt_u32 s6, s8
	global_load_dwordx2 v[28:29], v[4:5], off
	s_cselect_b32 s0, 12, 18
	s_add_u32 s0, s1, s0
	v_mov_b32_e32 v8, 0
	s_addc_u32 s1, s2, 0
	global_load_ushort v9, v8, s[0:1]
	v_mul_u32_u24_e32 v6, 5, v2
	v_lshlrev_b32_e32 v31, 2, v6
	ds_write2_b32 v31, v8, v8 offset0:4 offset1:5
	ds_write2_b32 v31, v8, v8 offset0:6 offset1:7
	ds_write_b32 v31, v8 offset:32
	s_movk_i32 s0, 0x1000
	v_bfe_u32 v1, v0, 10, 10
	v_bfe_u32 v0, v0, 20, 10
	global_load_dwordx2 v[6:7], v[4:5], off offset:512
	global_load_dwordx2 v[26:27], v[4:5], off offset:1024
	;; [unrolled: 1-line block ×7, first 2 shown]
	v_mad_u32_u24 v33, v0, s3, v1
	v_add_co_u32_e32 v0, vcc, s0, v4
	v_addc_co_u32_e32 v1, vcc, 0, v5, vcc
	global_load_dwordx2 v[20:21], v[0:1], off
	global_load_dwordx2 v[16:17], v[0:1], off offset:512
	global_load_dwordx2 v[12:13], v[0:1], off offset:1024
	;; [unrolled: 1-line block ×3, first 2 shown]
	s_lshl_b32 s0, -1, s69
	s_not_b32 s9, s0
	s_waitcnt lgkmcnt(0)
	s_barrier
	s_waitcnt lgkmcnt(0)
	; wave barrier
	s_waitcnt vmcnt(12)
	v_xor_b32_e32 v1, 0x7fffffff, v29
	v_not_b32_e32 v0, v28
	v_lshrrev_b64 v[28:29], s68, v[0:1]
	v_and_b32_e32 v34, s9, v28
	s_waitcnt vmcnt(11)
	v_mad_u64_u32 v[28:29], s[0:1], v33, v9, v[2:3]
	v_and_b32_e32 v33, 1, v34
	v_lshrrev_b32_e32 v39, 6, v28
	v_add_co_u32_e32 v28, vcc, -1, v33
	v_lshlrev_b32_e32 v9, 30, v34
	v_addc_co_u32_e64 v35, s[0:1], 0, -1, vcc
	v_lshl_add_u32 v29, v34, 2, v34
	v_cmp_ne_u32_e32 vcc, 0, v33
	v_cmp_gt_i64_e64 s[0:1], 0, v[8:9]
	v_not_b32_e32 v36, v9
	v_lshlrev_b32_e32 v9, 29, v34
	v_add_lshl_u32 v33, v39, v29, 2
	v_xor_b32_e32 v29, vcc_hi, v35
	v_xor_b32_e32 v28, vcc_lo, v28
	v_ashrrev_i32_e32 v35, 31, v36
	v_not_b32_e32 v36, v9
	v_cmp_gt_i64_e32 vcc, 0, v[8:9]
	v_lshlrev_b32_e32 v9, 28, v34
	v_and_b32_e32 v28, exec_lo, v28
	v_xor_b32_e32 v37, s1, v35
	v_xor_b32_e32 v35, s0, v35
	v_ashrrev_i32_e32 v36, 31, v36
	v_and_b32_e32 v29, exec_hi, v29
	v_and_b32_e32 v28, v28, v35
	v_xor_b32_e32 v35, vcc_hi, v36
	v_xor_b32_e32 v36, vcc_lo, v36
	v_cmp_gt_i64_e32 vcc, 0, v[8:9]
	v_not_b32_e32 v9, v9
	v_and_b32_e32 v29, v29, v37
	v_ashrrev_i32_e32 v9, 31, v9
	v_and_b32_e32 v29, v29, v35
	v_and_b32_e32 v28, v28, v36
	v_xor_b32_e32 v35, vcc_hi, v9
	v_xor_b32_e32 v9, vcc_lo, v9
	v_and_b32_e32 v28, v28, v9
	v_lshlrev_b32_e32 v9, 27, v34
	v_cmp_gt_i64_e32 vcc, 0, v[8:9]
	v_not_b32_e32 v9, v9
	v_ashrrev_i32_e32 v9, 31, v9
	v_and_b32_e32 v29, v29, v35
	v_xor_b32_e32 v35, vcc_hi, v9
	v_xor_b32_e32 v9, vcc_lo, v9
	v_and_b32_e32 v28, v28, v9
	v_lshlrev_b32_e32 v9, 26, v34
	v_cmp_gt_i64_e32 vcc, 0, v[8:9]
	v_not_b32_e32 v9, v9
	v_ashrrev_i32_e32 v9, 31, v9
	;; [unrolled: 8-line block ×4, first 2 shown]
	v_xor_b32_e32 v34, vcc_hi, v9
	v_xor_b32_e32 v9, vcc_lo, v9
	v_and_b32_e32 v29, v29, v35
	v_and_b32_e32 v28, v28, v9
	;; [unrolled: 1-line block ×3, first 2 shown]
	v_mbcnt_lo_u32_b32 v9, v28, 0
	v_mbcnt_hi_u32_b32 v34, v29, v9
	v_cmp_eq_u32_e32 vcc, 0, v34
	v_cmp_ne_u64_e64 s[0:1], 0, v[28:29]
	s_and_b64 s[2:3], s[0:1], vcc
	s_and_saveexec_b64 s[0:1], s[2:3]
	s_cbranch_execz .LBB15_132
; %bb.131:
	v_bcnt_u32_b32 v9, v28, 0
	v_bcnt_u32_b32 v9, v29, v9
	ds_write_b32 v33, v9 offset:16
.LBB15_132:
	s_or_b64 exec, exec, s[0:1]
	s_waitcnt vmcnt(10)
	v_xor_b32_e32 v7, 0x7fffffff, v7
	v_not_b32_e32 v6, v6
	v_lshrrev_b64 v[28:29], s68, v[6:7]
	v_and_b32_e32 v28, s9, v28
	v_lshl_add_u32 v9, v28, 2, v28
	v_add_lshl_u32 v36, v39, v9, 2
	v_and_b32_e32 v9, 1, v28
	v_add_co_u32_e32 v29, vcc, -1, v9
	v_addc_co_u32_e64 v37, s[0:1], 0, -1, vcc
	v_cmp_ne_u32_e32 vcc, 0, v9
	v_xor_b32_e32 v9, vcc_hi, v37
	v_and_b32_e32 v37, exec_hi, v9
	v_lshlrev_b32_e32 v9, 30, v28
	v_xor_b32_e32 v29, vcc_lo, v29
	v_cmp_gt_i64_e32 vcc, 0, v[8:9]
	v_not_b32_e32 v9, v9
	v_ashrrev_i32_e32 v9, 31, v9
	v_and_b32_e32 v29, exec_lo, v29
	v_xor_b32_e32 v38, vcc_hi, v9
	v_xor_b32_e32 v9, vcc_lo, v9
	v_and_b32_e32 v29, v29, v9
	v_lshlrev_b32_e32 v9, 29, v28
	v_cmp_gt_i64_e32 vcc, 0, v[8:9]
	v_not_b32_e32 v9, v9
	v_ashrrev_i32_e32 v9, 31, v9
	v_and_b32_e32 v37, v37, v38
	v_xor_b32_e32 v38, vcc_hi, v9
	v_xor_b32_e32 v9, vcc_lo, v9
	v_and_b32_e32 v29, v29, v9
	v_lshlrev_b32_e32 v9, 28, v28
	v_cmp_gt_i64_e32 vcc, 0, v[8:9]
	v_not_b32_e32 v9, v9
	v_ashrrev_i32_e32 v9, 31, v9
	v_and_b32_e32 v37, v37, v38
	;; [unrolled: 8-line block ×5, first 2 shown]
	v_xor_b32_e32 v38, vcc_hi, v9
	v_xor_b32_e32 v9, vcc_lo, v9
	v_and_b32_e32 v29, v29, v9
	v_lshlrev_b32_e32 v9, 24, v28
	v_cmp_gt_i64_e32 vcc, 0, v[8:9]
	v_not_b32_e32 v8, v9
	v_ashrrev_i32_e32 v8, 31, v8
	v_xor_b32_e32 v9, vcc_hi, v8
	v_xor_b32_e32 v8, vcc_lo, v8
	; wave barrier
	ds_read_b32 v35, v36 offset:16
	v_and_b32_e32 v37, v37, v38
	v_and_b32_e32 v8, v29, v8
	;; [unrolled: 1-line block ×3, first 2 shown]
	v_mbcnt_lo_u32_b32 v28, v8, 0
	v_mbcnt_hi_u32_b32 v37, v9, v28
	v_cmp_eq_u32_e32 vcc, 0, v37
	v_cmp_ne_u64_e64 s[0:1], 0, v[8:9]
	s_and_b64 s[2:3], s[0:1], vcc
	; wave barrier
	s_and_saveexec_b64 s[0:1], s[2:3]
	s_cbranch_execz .LBB15_134
; %bb.133:
	v_bcnt_u32_b32 v8, v8, 0
	v_bcnt_u32_b32 v8, v9, v8
	s_waitcnt lgkmcnt(0)
	v_add_u32_e32 v8, v35, v8
	ds_write_b32 v36, v8 offset:16
.LBB15_134:
	s_or_b64 exec, exec, s[0:1]
	s_waitcnt vmcnt(9)
	v_xor_b32_e32 v9, 0x7fffffff, v27
	v_not_b32_e32 v8, v26
	v_lshrrev_b64 v[26:27], s68, v[8:9]
	v_and_b32_e32 v28, s9, v26
	v_and_b32_e32 v27, 1, v28
	v_add_co_u32_e32 v29, vcc, -1, v27
	v_addc_co_u32_e64 v41, s[0:1], 0, -1, vcc
	v_cmp_ne_u32_e32 vcc, 0, v27
	v_lshl_add_u32 v26, v28, 2, v28
	v_xor_b32_e32 v27, vcc_hi, v41
	v_add_lshl_u32 v40, v39, v26, 2
	v_mov_b32_e32 v26, 0
	v_and_b32_e32 v41, exec_hi, v27
	v_lshlrev_b32_e32 v27, 30, v28
	v_xor_b32_e32 v29, vcc_lo, v29
	v_cmp_gt_i64_e32 vcc, 0, v[26:27]
	v_not_b32_e32 v27, v27
	v_ashrrev_i32_e32 v27, 31, v27
	v_and_b32_e32 v29, exec_lo, v29
	v_xor_b32_e32 v42, vcc_hi, v27
	v_xor_b32_e32 v27, vcc_lo, v27
	v_and_b32_e32 v29, v29, v27
	v_lshlrev_b32_e32 v27, 29, v28
	v_cmp_gt_i64_e32 vcc, 0, v[26:27]
	v_not_b32_e32 v27, v27
	v_ashrrev_i32_e32 v27, 31, v27
	v_and_b32_e32 v41, v41, v42
	v_xor_b32_e32 v42, vcc_hi, v27
	v_xor_b32_e32 v27, vcc_lo, v27
	v_and_b32_e32 v29, v29, v27
	v_lshlrev_b32_e32 v27, 28, v28
	v_cmp_gt_i64_e32 vcc, 0, v[26:27]
	v_not_b32_e32 v27, v27
	v_ashrrev_i32_e32 v27, 31, v27
	v_and_b32_e32 v41, v41, v42
	;; [unrolled: 8-line block ×5, first 2 shown]
	v_xor_b32_e32 v42, vcc_hi, v27
	v_xor_b32_e32 v27, vcc_lo, v27
	v_and_b32_e32 v41, v41, v42
	v_and_b32_e32 v42, v29, v27
	v_lshlrev_b32_e32 v27, 24, v28
	v_cmp_gt_i64_e32 vcc, 0, v[26:27]
	v_not_b32_e32 v27, v27
	v_ashrrev_i32_e32 v27, 31, v27
	v_xor_b32_e32 v28, vcc_hi, v27
	v_xor_b32_e32 v27, vcc_lo, v27
	; wave barrier
	ds_read_b32 v38, v40 offset:16
	v_and_b32_e32 v29, v41, v28
	v_and_b32_e32 v28, v42, v27
	v_mbcnt_lo_u32_b32 v27, v28, 0
	v_mbcnt_hi_u32_b32 v41, v29, v27
	v_cmp_eq_u32_e32 vcc, 0, v41
	v_cmp_ne_u64_e64 s[0:1], 0, v[28:29]
	s_and_b64 s[2:3], s[0:1], vcc
	; wave barrier
	s_and_saveexec_b64 s[0:1], s[2:3]
	s_cbranch_execz .LBB15_136
; %bb.135:
	v_bcnt_u32_b32 v27, v28, 0
	v_bcnt_u32_b32 v27, v29, v27
	s_waitcnt lgkmcnt(0)
	v_add_u32_e32 v27, v38, v27
	ds_write_b32 v40, v27 offset:16
.LBB15_136:
	s_or_b64 exec, exec, s[0:1]
	s_waitcnt vmcnt(8)
	v_xor_b32_e32 v11, 0x7fffffff, v11
	v_not_b32_e32 v10, v10
	v_lshrrev_b64 v[28:29], s68, v[10:11]
	v_and_b32_e32 v28, s9, v28
	v_lshl_add_u32 v27, v28, 2, v28
	v_add_lshl_u32 v43, v39, v27, 2
	v_and_b32_e32 v27, 1, v28
	v_add_co_u32_e32 v29, vcc, -1, v27
	v_addc_co_u32_e64 v44, s[0:1], 0, -1, vcc
	v_cmp_ne_u32_e32 vcc, 0, v27
	v_xor_b32_e32 v27, vcc_hi, v44
	v_and_b32_e32 v44, exec_hi, v27
	v_lshlrev_b32_e32 v27, 30, v28
	v_xor_b32_e32 v29, vcc_lo, v29
	v_cmp_gt_i64_e32 vcc, 0, v[26:27]
	v_not_b32_e32 v27, v27
	v_ashrrev_i32_e32 v27, 31, v27
	v_and_b32_e32 v29, exec_lo, v29
	v_xor_b32_e32 v45, vcc_hi, v27
	v_xor_b32_e32 v27, vcc_lo, v27
	v_and_b32_e32 v29, v29, v27
	v_lshlrev_b32_e32 v27, 29, v28
	v_cmp_gt_i64_e32 vcc, 0, v[26:27]
	v_not_b32_e32 v27, v27
	v_ashrrev_i32_e32 v27, 31, v27
	v_and_b32_e32 v44, v44, v45
	v_xor_b32_e32 v45, vcc_hi, v27
	v_xor_b32_e32 v27, vcc_lo, v27
	v_and_b32_e32 v29, v29, v27
	v_lshlrev_b32_e32 v27, 28, v28
	v_cmp_gt_i64_e32 vcc, 0, v[26:27]
	v_not_b32_e32 v27, v27
	v_ashrrev_i32_e32 v27, 31, v27
	v_and_b32_e32 v44, v44, v45
	v_xor_b32_e32 v45, vcc_hi, v27
	v_xor_b32_e32 v27, vcc_lo, v27
	v_and_b32_e32 v29, v29, v27
	v_lshlrev_b32_e32 v27, 27, v28
	v_cmp_gt_i64_e32 vcc, 0, v[26:27]
	v_not_b32_e32 v27, v27
	v_ashrrev_i32_e32 v27, 31, v27
	v_and_b32_e32 v44, v44, v45
	v_xor_b32_e32 v45, vcc_hi, v27
	v_xor_b32_e32 v27, vcc_lo, v27
	v_and_b32_e32 v29, v29, v27
	v_lshlrev_b32_e32 v27, 26, v28
	v_cmp_gt_i64_e32 vcc, 0, v[26:27]
	v_not_b32_e32 v27, v27
	v_ashrrev_i32_e32 v27, 31, v27
	v_and_b32_e32 v44, v44, v45
	v_xor_b32_e32 v45, vcc_hi, v27
	v_xor_b32_e32 v27, vcc_lo, v27
	v_and_b32_e32 v29, v29, v27
	v_lshlrev_b32_e32 v27, 25, v28
	v_cmp_gt_i64_e32 vcc, 0, v[26:27]
	v_not_b32_e32 v27, v27
	v_ashrrev_i32_e32 v27, 31, v27
	v_and_b32_e32 v44, v44, v45
	v_xor_b32_e32 v45, vcc_hi, v27
	v_xor_b32_e32 v27, vcc_lo, v27
	v_and_b32_e32 v29, v29, v27
	v_lshlrev_b32_e32 v27, 24, v28
	v_cmp_gt_i64_e32 vcc, 0, v[26:27]
	v_not_b32_e32 v26, v27
	v_ashrrev_i32_e32 v26, 31, v26
	v_xor_b32_e32 v27, vcc_hi, v26
	v_xor_b32_e32 v26, vcc_lo, v26
	; wave barrier
	ds_read_b32 v42, v43 offset:16
	v_and_b32_e32 v44, v44, v45
	v_and_b32_e32 v26, v29, v26
	;; [unrolled: 1-line block ×3, first 2 shown]
	v_mbcnt_lo_u32_b32 v28, v26, 0
	v_mbcnt_hi_u32_b32 v44, v27, v28
	v_cmp_eq_u32_e32 vcc, 0, v44
	v_cmp_ne_u64_e64 s[0:1], 0, v[26:27]
	s_and_b64 s[2:3], s[0:1], vcc
	; wave barrier
	s_and_saveexec_b64 s[0:1], s[2:3]
	s_cbranch_execz .LBB15_138
; %bb.137:
	v_bcnt_u32_b32 v26, v26, 0
	v_bcnt_u32_b32 v26, v27, v26
	s_waitcnt lgkmcnt(0)
	v_add_u32_e32 v26, v42, v26
	ds_write_b32 v43, v26 offset:16
.LBB15_138:
	s_or_b64 exec, exec, s[0:1]
	s_waitcnt vmcnt(7)
	v_xor_b32_e32 v15, 0x7fffffff, v15
	v_not_b32_e32 v14, v14
	v_lshrrev_b64 v[26:27], s68, v[14:15]
	v_and_b32_e32 v28, s9, v26
	v_and_b32_e32 v27, 1, v28
	v_add_co_u32_e32 v29, vcc, -1, v27
	v_addc_co_u32_e64 v47, s[0:1], 0, -1, vcc
	v_cmp_ne_u32_e32 vcc, 0, v27
	v_lshl_add_u32 v26, v28, 2, v28
	v_xor_b32_e32 v27, vcc_hi, v47
	v_add_lshl_u32 v46, v39, v26, 2
	v_mov_b32_e32 v26, 0
	v_and_b32_e32 v47, exec_hi, v27
	v_lshlrev_b32_e32 v27, 30, v28
	v_xor_b32_e32 v29, vcc_lo, v29
	v_cmp_gt_i64_e32 vcc, 0, v[26:27]
	v_not_b32_e32 v27, v27
	v_ashrrev_i32_e32 v27, 31, v27
	v_and_b32_e32 v29, exec_lo, v29
	v_xor_b32_e32 v48, vcc_hi, v27
	v_xor_b32_e32 v27, vcc_lo, v27
	v_and_b32_e32 v29, v29, v27
	v_lshlrev_b32_e32 v27, 29, v28
	v_cmp_gt_i64_e32 vcc, 0, v[26:27]
	v_not_b32_e32 v27, v27
	v_ashrrev_i32_e32 v27, 31, v27
	v_and_b32_e32 v47, v47, v48
	v_xor_b32_e32 v48, vcc_hi, v27
	v_xor_b32_e32 v27, vcc_lo, v27
	v_and_b32_e32 v29, v29, v27
	v_lshlrev_b32_e32 v27, 28, v28
	v_cmp_gt_i64_e32 vcc, 0, v[26:27]
	v_not_b32_e32 v27, v27
	v_ashrrev_i32_e32 v27, 31, v27
	v_and_b32_e32 v47, v47, v48
	;; [unrolled: 8-line block ×5, first 2 shown]
	v_xor_b32_e32 v48, vcc_hi, v27
	v_xor_b32_e32 v27, vcc_lo, v27
	v_and_b32_e32 v47, v47, v48
	v_and_b32_e32 v48, v29, v27
	v_lshlrev_b32_e32 v27, 24, v28
	v_cmp_gt_i64_e32 vcc, 0, v[26:27]
	v_not_b32_e32 v27, v27
	v_ashrrev_i32_e32 v27, 31, v27
	v_xor_b32_e32 v28, vcc_hi, v27
	v_xor_b32_e32 v27, vcc_lo, v27
	; wave barrier
	ds_read_b32 v45, v46 offset:16
	v_and_b32_e32 v29, v47, v28
	v_and_b32_e32 v28, v48, v27
	v_mbcnt_lo_u32_b32 v27, v28, 0
	v_mbcnt_hi_u32_b32 v47, v29, v27
	v_cmp_eq_u32_e32 vcc, 0, v47
	v_cmp_ne_u64_e64 s[0:1], 0, v[28:29]
	s_and_b64 s[2:3], s[0:1], vcc
	; wave barrier
	s_and_saveexec_b64 s[0:1], s[2:3]
	s_cbranch_execz .LBB15_140
; %bb.139:
	v_bcnt_u32_b32 v27, v28, 0
	v_bcnt_u32_b32 v27, v29, v27
	s_waitcnt lgkmcnt(0)
	v_add_u32_e32 v27, v45, v27
	ds_write_b32 v46, v27 offset:16
.LBB15_140:
	s_or_b64 exec, exec, s[0:1]
	s_waitcnt vmcnt(6)
	v_xor_b32_e32 v19, 0x7fffffff, v19
	v_not_b32_e32 v18, v18
	v_lshrrev_b64 v[28:29], s68, v[18:19]
	v_and_b32_e32 v28, s9, v28
	v_lshl_add_u32 v27, v28, 2, v28
	v_add_lshl_u32 v49, v39, v27, 2
	v_and_b32_e32 v27, 1, v28
	v_add_co_u32_e32 v29, vcc, -1, v27
	v_addc_co_u32_e64 v50, s[0:1], 0, -1, vcc
	v_cmp_ne_u32_e32 vcc, 0, v27
	v_xor_b32_e32 v27, vcc_hi, v50
	v_and_b32_e32 v50, exec_hi, v27
	v_lshlrev_b32_e32 v27, 30, v28
	v_xor_b32_e32 v29, vcc_lo, v29
	v_cmp_gt_i64_e32 vcc, 0, v[26:27]
	v_not_b32_e32 v27, v27
	v_ashrrev_i32_e32 v27, 31, v27
	v_and_b32_e32 v29, exec_lo, v29
	v_xor_b32_e32 v51, vcc_hi, v27
	v_xor_b32_e32 v27, vcc_lo, v27
	v_and_b32_e32 v29, v29, v27
	v_lshlrev_b32_e32 v27, 29, v28
	v_cmp_gt_i64_e32 vcc, 0, v[26:27]
	v_not_b32_e32 v27, v27
	v_ashrrev_i32_e32 v27, 31, v27
	v_and_b32_e32 v50, v50, v51
	v_xor_b32_e32 v51, vcc_hi, v27
	v_xor_b32_e32 v27, vcc_lo, v27
	v_and_b32_e32 v29, v29, v27
	v_lshlrev_b32_e32 v27, 28, v28
	v_cmp_gt_i64_e32 vcc, 0, v[26:27]
	v_not_b32_e32 v27, v27
	v_ashrrev_i32_e32 v27, 31, v27
	v_and_b32_e32 v50, v50, v51
	v_xor_b32_e32 v51, vcc_hi, v27
	v_xor_b32_e32 v27, vcc_lo, v27
	v_and_b32_e32 v29, v29, v27
	v_lshlrev_b32_e32 v27, 27, v28
	v_cmp_gt_i64_e32 vcc, 0, v[26:27]
	v_not_b32_e32 v27, v27
	v_ashrrev_i32_e32 v27, 31, v27
	v_and_b32_e32 v50, v50, v51
	v_xor_b32_e32 v51, vcc_hi, v27
	v_xor_b32_e32 v27, vcc_lo, v27
	v_and_b32_e32 v29, v29, v27
	v_lshlrev_b32_e32 v27, 26, v28
	v_cmp_gt_i64_e32 vcc, 0, v[26:27]
	v_not_b32_e32 v27, v27
	v_ashrrev_i32_e32 v27, 31, v27
	v_and_b32_e32 v50, v50, v51
	v_xor_b32_e32 v51, vcc_hi, v27
	v_xor_b32_e32 v27, vcc_lo, v27
	v_and_b32_e32 v29, v29, v27
	v_lshlrev_b32_e32 v27, 25, v28
	v_cmp_gt_i64_e32 vcc, 0, v[26:27]
	v_not_b32_e32 v27, v27
	v_ashrrev_i32_e32 v27, 31, v27
	v_and_b32_e32 v50, v50, v51
	v_xor_b32_e32 v51, vcc_hi, v27
	v_xor_b32_e32 v27, vcc_lo, v27
	v_and_b32_e32 v29, v29, v27
	v_lshlrev_b32_e32 v27, 24, v28
	v_cmp_gt_i64_e32 vcc, 0, v[26:27]
	v_not_b32_e32 v26, v27
	v_ashrrev_i32_e32 v26, 31, v26
	v_xor_b32_e32 v27, vcc_hi, v26
	v_xor_b32_e32 v26, vcc_lo, v26
	; wave barrier
	ds_read_b32 v48, v49 offset:16
	v_and_b32_e32 v50, v50, v51
	v_and_b32_e32 v26, v29, v26
	v_and_b32_e32 v27, v50, v27
	v_mbcnt_lo_u32_b32 v28, v26, 0
	v_mbcnt_hi_u32_b32 v50, v27, v28
	v_cmp_eq_u32_e32 vcc, 0, v50
	v_cmp_ne_u64_e64 s[0:1], 0, v[26:27]
	s_and_b64 s[2:3], s[0:1], vcc
	; wave barrier
	s_and_saveexec_b64 s[0:1], s[2:3]
	s_cbranch_execz .LBB15_142
; %bb.141:
	v_bcnt_u32_b32 v26, v26, 0
	v_bcnt_u32_b32 v26, v27, v26
	s_waitcnt lgkmcnt(0)
	v_add_u32_e32 v26, v48, v26
	ds_write_b32 v49, v26 offset:16
.LBB15_142:
	s_or_b64 exec, exec, s[0:1]
	s_waitcnt vmcnt(5)
	v_xor_b32_e32 v23, 0x7fffffff, v23
	v_not_b32_e32 v22, v22
	v_lshrrev_b64 v[26:27], s68, v[22:23]
	v_and_b32_e32 v28, s9, v26
	v_and_b32_e32 v27, 1, v28
	v_add_co_u32_e32 v29, vcc, -1, v27
	v_addc_co_u32_e64 v53, s[0:1], 0, -1, vcc
	v_cmp_ne_u32_e32 vcc, 0, v27
	v_lshl_add_u32 v26, v28, 2, v28
	v_xor_b32_e32 v27, vcc_hi, v53
	v_add_lshl_u32 v52, v39, v26, 2
	v_mov_b32_e32 v26, 0
	v_and_b32_e32 v53, exec_hi, v27
	v_lshlrev_b32_e32 v27, 30, v28
	v_xor_b32_e32 v29, vcc_lo, v29
	v_cmp_gt_i64_e32 vcc, 0, v[26:27]
	v_not_b32_e32 v27, v27
	v_ashrrev_i32_e32 v27, 31, v27
	v_and_b32_e32 v29, exec_lo, v29
	v_xor_b32_e32 v54, vcc_hi, v27
	v_xor_b32_e32 v27, vcc_lo, v27
	v_and_b32_e32 v29, v29, v27
	v_lshlrev_b32_e32 v27, 29, v28
	v_cmp_gt_i64_e32 vcc, 0, v[26:27]
	v_not_b32_e32 v27, v27
	v_ashrrev_i32_e32 v27, 31, v27
	v_and_b32_e32 v53, v53, v54
	v_xor_b32_e32 v54, vcc_hi, v27
	v_xor_b32_e32 v27, vcc_lo, v27
	v_and_b32_e32 v29, v29, v27
	v_lshlrev_b32_e32 v27, 28, v28
	v_cmp_gt_i64_e32 vcc, 0, v[26:27]
	v_not_b32_e32 v27, v27
	v_ashrrev_i32_e32 v27, 31, v27
	v_and_b32_e32 v53, v53, v54
	;; [unrolled: 8-line block ×5, first 2 shown]
	v_xor_b32_e32 v54, vcc_hi, v27
	v_xor_b32_e32 v27, vcc_lo, v27
	v_and_b32_e32 v53, v53, v54
	v_and_b32_e32 v54, v29, v27
	v_lshlrev_b32_e32 v27, 24, v28
	v_cmp_gt_i64_e32 vcc, 0, v[26:27]
	v_not_b32_e32 v27, v27
	v_ashrrev_i32_e32 v27, 31, v27
	v_xor_b32_e32 v28, vcc_hi, v27
	v_xor_b32_e32 v27, vcc_lo, v27
	; wave barrier
	ds_read_b32 v51, v52 offset:16
	v_and_b32_e32 v29, v53, v28
	v_and_b32_e32 v28, v54, v27
	v_mbcnt_lo_u32_b32 v27, v28, 0
	v_mbcnt_hi_u32_b32 v53, v29, v27
	v_cmp_eq_u32_e32 vcc, 0, v53
	v_cmp_ne_u64_e64 s[0:1], 0, v[28:29]
	s_and_b64 s[2:3], s[0:1], vcc
	; wave barrier
	s_and_saveexec_b64 s[0:1], s[2:3]
	s_cbranch_execz .LBB15_144
; %bb.143:
	v_bcnt_u32_b32 v27, v28, 0
	v_bcnt_u32_b32 v27, v29, v27
	s_waitcnt lgkmcnt(0)
	v_add_u32_e32 v27, v51, v27
	ds_write_b32 v52, v27 offset:16
.LBB15_144:
	s_or_b64 exec, exec, s[0:1]
	s_waitcnt vmcnt(4)
	v_xor_b32_e32 v25, 0x7fffffff, v25
	v_not_b32_e32 v24, v24
	v_lshrrev_b64 v[28:29], s68, v[24:25]
	v_and_b32_e32 v28, s9, v28
	v_lshl_add_u32 v27, v28, 2, v28
	v_add_lshl_u32 v55, v39, v27, 2
	v_and_b32_e32 v27, 1, v28
	v_add_co_u32_e32 v29, vcc, -1, v27
	v_addc_co_u32_e64 v56, s[0:1], 0, -1, vcc
	v_cmp_ne_u32_e32 vcc, 0, v27
	v_xor_b32_e32 v27, vcc_hi, v56
	v_and_b32_e32 v56, exec_hi, v27
	v_lshlrev_b32_e32 v27, 30, v28
	v_xor_b32_e32 v29, vcc_lo, v29
	v_cmp_gt_i64_e32 vcc, 0, v[26:27]
	v_not_b32_e32 v27, v27
	v_ashrrev_i32_e32 v27, 31, v27
	v_and_b32_e32 v29, exec_lo, v29
	v_xor_b32_e32 v57, vcc_hi, v27
	v_xor_b32_e32 v27, vcc_lo, v27
	v_and_b32_e32 v29, v29, v27
	v_lshlrev_b32_e32 v27, 29, v28
	v_cmp_gt_i64_e32 vcc, 0, v[26:27]
	v_not_b32_e32 v27, v27
	v_ashrrev_i32_e32 v27, 31, v27
	v_and_b32_e32 v56, v56, v57
	v_xor_b32_e32 v57, vcc_hi, v27
	v_xor_b32_e32 v27, vcc_lo, v27
	v_and_b32_e32 v29, v29, v27
	v_lshlrev_b32_e32 v27, 28, v28
	v_cmp_gt_i64_e32 vcc, 0, v[26:27]
	v_not_b32_e32 v27, v27
	v_ashrrev_i32_e32 v27, 31, v27
	v_and_b32_e32 v56, v56, v57
	;; [unrolled: 8-line block ×5, first 2 shown]
	v_xor_b32_e32 v57, vcc_hi, v27
	v_xor_b32_e32 v27, vcc_lo, v27
	v_and_b32_e32 v29, v29, v27
	v_lshlrev_b32_e32 v27, 24, v28
	v_cmp_gt_i64_e32 vcc, 0, v[26:27]
	v_not_b32_e32 v26, v27
	v_ashrrev_i32_e32 v26, 31, v26
	v_xor_b32_e32 v27, vcc_hi, v26
	v_xor_b32_e32 v26, vcc_lo, v26
	; wave barrier
	ds_read_b32 v54, v55 offset:16
	v_and_b32_e32 v56, v56, v57
	v_and_b32_e32 v26, v29, v26
	;; [unrolled: 1-line block ×3, first 2 shown]
	v_mbcnt_lo_u32_b32 v28, v26, 0
	v_mbcnt_hi_u32_b32 v56, v27, v28
	v_cmp_eq_u32_e32 vcc, 0, v56
	v_cmp_ne_u64_e64 s[0:1], 0, v[26:27]
	s_and_b64 s[2:3], s[0:1], vcc
	; wave barrier
	s_and_saveexec_b64 s[0:1], s[2:3]
	s_cbranch_execz .LBB15_146
; %bb.145:
	v_bcnt_u32_b32 v26, v26, 0
	v_bcnt_u32_b32 v26, v27, v26
	s_waitcnt lgkmcnt(0)
	v_add_u32_e32 v26, v54, v26
	ds_write_b32 v55, v26 offset:16
.LBB15_146:
	s_or_b64 exec, exec, s[0:1]
	s_waitcnt vmcnt(3)
	v_xor_b32_e32 v21, 0x7fffffff, v21
	v_not_b32_e32 v20, v20
	v_lshrrev_b64 v[26:27], s68, v[20:21]
	v_and_b32_e32 v28, s9, v26
	v_and_b32_e32 v27, 1, v28
	v_add_co_u32_e32 v29, vcc, -1, v27
	v_addc_co_u32_e64 v59, s[0:1], 0, -1, vcc
	v_cmp_ne_u32_e32 vcc, 0, v27
	v_lshl_add_u32 v26, v28, 2, v28
	v_xor_b32_e32 v27, vcc_hi, v59
	v_add_lshl_u32 v58, v39, v26, 2
	v_mov_b32_e32 v26, 0
	v_and_b32_e32 v59, exec_hi, v27
	v_lshlrev_b32_e32 v27, 30, v28
	v_xor_b32_e32 v29, vcc_lo, v29
	v_cmp_gt_i64_e32 vcc, 0, v[26:27]
	v_not_b32_e32 v27, v27
	v_ashrrev_i32_e32 v27, 31, v27
	v_and_b32_e32 v29, exec_lo, v29
	v_xor_b32_e32 v60, vcc_hi, v27
	v_xor_b32_e32 v27, vcc_lo, v27
	v_and_b32_e32 v29, v29, v27
	v_lshlrev_b32_e32 v27, 29, v28
	v_cmp_gt_i64_e32 vcc, 0, v[26:27]
	v_not_b32_e32 v27, v27
	v_ashrrev_i32_e32 v27, 31, v27
	v_and_b32_e32 v59, v59, v60
	v_xor_b32_e32 v60, vcc_hi, v27
	v_xor_b32_e32 v27, vcc_lo, v27
	v_and_b32_e32 v29, v29, v27
	v_lshlrev_b32_e32 v27, 28, v28
	v_cmp_gt_i64_e32 vcc, 0, v[26:27]
	v_not_b32_e32 v27, v27
	v_ashrrev_i32_e32 v27, 31, v27
	v_and_b32_e32 v59, v59, v60
	;; [unrolled: 8-line block ×5, first 2 shown]
	v_xor_b32_e32 v60, vcc_hi, v27
	v_xor_b32_e32 v27, vcc_lo, v27
	v_and_b32_e32 v59, v59, v60
	v_and_b32_e32 v60, v29, v27
	v_lshlrev_b32_e32 v27, 24, v28
	v_cmp_gt_i64_e32 vcc, 0, v[26:27]
	v_not_b32_e32 v27, v27
	v_ashrrev_i32_e32 v27, 31, v27
	v_xor_b32_e32 v28, vcc_hi, v27
	v_xor_b32_e32 v27, vcc_lo, v27
	; wave barrier
	ds_read_b32 v57, v58 offset:16
	v_and_b32_e32 v29, v59, v28
	v_and_b32_e32 v28, v60, v27
	v_mbcnt_lo_u32_b32 v27, v28, 0
	v_mbcnt_hi_u32_b32 v59, v29, v27
	v_cmp_eq_u32_e32 vcc, 0, v59
	v_cmp_ne_u64_e64 s[0:1], 0, v[28:29]
	s_and_b64 s[2:3], s[0:1], vcc
	; wave barrier
	s_and_saveexec_b64 s[0:1], s[2:3]
	s_cbranch_execz .LBB15_148
; %bb.147:
	v_bcnt_u32_b32 v27, v28, 0
	v_bcnt_u32_b32 v27, v29, v27
	s_waitcnt lgkmcnt(0)
	v_add_u32_e32 v27, v57, v27
	ds_write_b32 v58, v27 offset:16
.LBB15_148:
	s_or_b64 exec, exec, s[0:1]
	s_waitcnt vmcnt(2)
	v_xor_b32_e32 v17, 0x7fffffff, v17
	v_not_b32_e32 v16, v16
	v_lshrrev_b64 v[28:29], s68, v[16:17]
	v_and_b32_e32 v28, s9, v28
	v_lshl_add_u32 v27, v28, 2, v28
	v_add_lshl_u32 v61, v39, v27, 2
	v_and_b32_e32 v27, 1, v28
	v_add_co_u32_e32 v29, vcc, -1, v27
	v_addc_co_u32_e64 v62, s[0:1], 0, -1, vcc
	v_cmp_ne_u32_e32 vcc, 0, v27
	v_xor_b32_e32 v27, vcc_hi, v62
	v_and_b32_e32 v62, exec_hi, v27
	v_lshlrev_b32_e32 v27, 30, v28
	v_xor_b32_e32 v29, vcc_lo, v29
	v_cmp_gt_i64_e32 vcc, 0, v[26:27]
	v_not_b32_e32 v27, v27
	v_ashrrev_i32_e32 v27, 31, v27
	v_and_b32_e32 v29, exec_lo, v29
	v_xor_b32_e32 v63, vcc_hi, v27
	v_xor_b32_e32 v27, vcc_lo, v27
	v_and_b32_e32 v29, v29, v27
	v_lshlrev_b32_e32 v27, 29, v28
	v_cmp_gt_i64_e32 vcc, 0, v[26:27]
	v_not_b32_e32 v27, v27
	v_ashrrev_i32_e32 v27, 31, v27
	v_and_b32_e32 v62, v62, v63
	v_xor_b32_e32 v63, vcc_hi, v27
	v_xor_b32_e32 v27, vcc_lo, v27
	v_and_b32_e32 v29, v29, v27
	v_lshlrev_b32_e32 v27, 28, v28
	v_cmp_gt_i64_e32 vcc, 0, v[26:27]
	v_not_b32_e32 v27, v27
	v_ashrrev_i32_e32 v27, 31, v27
	v_and_b32_e32 v62, v62, v63
	v_xor_b32_e32 v63, vcc_hi, v27
	v_xor_b32_e32 v27, vcc_lo, v27
	v_and_b32_e32 v29, v29, v27
	v_lshlrev_b32_e32 v27, 27, v28
	v_cmp_gt_i64_e32 vcc, 0, v[26:27]
	v_not_b32_e32 v27, v27
	v_ashrrev_i32_e32 v27, 31, v27
	v_and_b32_e32 v62, v62, v63
	v_xor_b32_e32 v63, vcc_hi, v27
	v_xor_b32_e32 v27, vcc_lo, v27
	v_and_b32_e32 v29, v29, v27
	v_lshlrev_b32_e32 v27, 26, v28
	v_cmp_gt_i64_e32 vcc, 0, v[26:27]
	v_not_b32_e32 v27, v27
	v_ashrrev_i32_e32 v27, 31, v27
	v_and_b32_e32 v62, v62, v63
	v_xor_b32_e32 v63, vcc_hi, v27
	v_xor_b32_e32 v27, vcc_lo, v27
	v_and_b32_e32 v29, v29, v27
	v_lshlrev_b32_e32 v27, 25, v28
	v_cmp_gt_i64_e32 vcc, 0, v[26:27]
	v_not_b32_e32 v27, v27
	v_ashrrev_i32_e32 v27, 31, v27
	v_and_b32_e32 v62, v62, v63
	v_xor_b32_e32 v63, vcc_hi, v27
	v_xor_b32_e32 v27, vcc_lo, v27
	v_and_b32_e32 v29, v29, v27
	v_lshlrev_b32_e32 v27, 24, v28
	v_cmp_gt_i64_e32 vcc, 0, v[26:27]
	v_not_b32_e32 v26, v27
	v_ashrrev_i32_e32 v26, 31, v26
	v_xor_b32_e32 v27, vcc_hi, v26
	v_xor_b32_e32 v26, vcc_lo, v26
	; wave barrier
	ds_read_b32 v60, v61 offset:16
	v_and_b32_e32 v62, v62, v63
	v_and_b32_e32 v26, v29, v26
	;; [unrolled: 1-line block ×3, first 2 shown]
	v_mbcnt_lo_u32_b32 v28, v26, 0
	v_mbcnt_hi_u32_b32 v62, v27, v28
	v_cmp_eq_u32_e32 vcc, 0, v62
	v_cmp_ne_u64_e64 s[0:1], 0, v[26:27]
	s_and_b64 s[2:3], s[0:1], vcc
	; wave barrier
	s_and_saveexec_b64 s[0:1], s[2:3]
	s_cbranch_execz .LBB15_150
; %bb.149:
	v_bcnt_u32_b32 v26, v26, 0
	v_bcnt_u32_b32 v26, v27, v26
	s_waitcnt lgkmcnt(0)
	v_add_u32_e32 v26, v60, v26
	ds_write_b32 v61, v26 offset:16
.LBB15_150:
	s_or_b64 exec, exec, s[0:1]
	s_waitcnt vmcnt(1)
	v_xor_b32_e32 v13, 0x7fffffff, v13
	v_not_b32_e32 v12, v12
	v_lshrrev_b64 v[26:27], s68, v[12:13]
	v_and_b32_e32 v26, s9, v26
	v_lshl_add_u32 v27, v26, 2, v26
	v_add_lshl_u32 v64, v39, v27, 2
	v_and_b32_e32 v27, 1, v26
	v_add_co_u32_e32 v29, vcc, -1, v27
	v_addc_co_u32_e64 v65, s[0:1], 0, -1, vcc
	v_cmp_ne_u32_e32 vcc, 0, v27
	v_xor_b32_e32 v29, vcc_lo, v29
	v_mov_b32_e32 v28, 0
	v_xor_b32_e32 v27, vcc_hi, v65
	v_and_b32_e32 v65, exec_lo, v29
	v_lshlrev_b32_e32 v29, 30, v26
	v_cmp_gt_i64_e32 vcc, 0, v[28:29]
	v_not_b32_e32 v29, v29
	v_ashrrev_i32_e32 v29, 31, v29
	v_xor_b32_e32 v66, vcc_hi, v29
	v_xor_b32_e32 v29, vcc_lo, v29
	v_and_b32_e32 v65, v65, v29
	v_lshlrev_b32_e32 v29, 29, v26
	v_cmp_gt_i64_e32 vcc, 0, v[28:29]
	v_not_b32_e32 v29, v29
	v_and_b32_e32 v27, exec_hi, v27
	v_ashrrev_i32_e32 v29, 31, v29
	v_and_b32_e32 v27, v27, v66
	v_xor_b32_e32 v66, vcc_hi, v29
	v_xor_b32_e32 v29, vcc_lo, v29
	v_and_b32_e32 v65, v65, v29
	v_lshlrev_b32_e32 v29, 28, v26
	v_cmp_gt_i64_e32 vcc, 0, v[28:29]
	v_not_b32_e32 v29, v29
	v_ashrrev_i32_e32 v29, 31, v29
	v_and_b32_e32 v27, v27, v66
	v_xor_b32_e32 v66, vcc_hi, v29
	v_xor_b32_e32 v29, vcc_lo, v29
	v_and_b32_e32 v65, v65, v29
	v_lshlrev_b32_e32 v29, 27, v26
	v_cmp_gt_i64_e32 vcc, 0, v[28:29]
	v_not_b32_e32 v29, v29
	;; [unrolled: 8-line block ×4, first 2 shown]
	v_ashrrev_i32_e32 v29, 31, v29
	v_and_b32_e32 v27, v27, v66
	v_xor_b32_e32 v66, vcc_hi, v29
	v_xor_b32_e32 v29, vcc_lo, v29
	v_and_b32_e32 v65, v65, v29
	v_lshlrev_b32_e32 v29, 24, v26
	v_not_b32_e32 v26, v29
	v_cmp_gt_i64_e32 vcc, 0, v[28:29]
	v_ashrrev_i32_e32 v26, 31, v26
	v_xor_b32_e32 v29, vcc_hi, v26
	v_xor_b32_e32 v26, vcc_lo, v26
	; wave barrier
	ds_read_b32 v63, v64 offset:16
	v_and_b32_e32 v27, v27, v66
	v_and_b32_e32 v26, v65, v26
	v_and_b32_e32 v27, v27, v29
	v_mbcnt_lo_u32_b32 v29, v26, 0
	v_mbcnt_hi_u32_b32 v65, v27, v29
	v_cmp_eq_u32_e32 vcc, 0, v65
	v_cmp_ne_u64_e64 s[0:1], 0, v[26:27]
	s_and_b64 s[2:3], s[0:1], vcc
	; wave barrier
	s_and_saveexec_b64 s[0:1], s[2:3]
	s_cbranch_execz .LBB15_152
; %bb.151:
	v_bcnt_u32_b32 v26, v26, 0
	v_bcnt_u32_b32 v26, v27, v26
	s_waitcnt lgkmcnt(0)
	v_add_u32_e32 v26, v63, v26
	ds_write_b32 v64, v26 offset:16
.LBB15_152:
	s_or_b64 exec, exec, s[0:1]
	s_waitcnt vmcnt(0)
	v_xor_b32_e32 v27, 0x7fffffff, v5
	v_not_b32_e32 v26, v4
	v_lshrrev_b64 v[4:5], s68, v[26:27]
	v_and_b32_e32 v4, s9, v4
	v_lshl_add_u32 v5, v4, 2, v4
	v_add_lshl_u32 v39, v39, v5, 2
	v_and_b32_e32 v5, 1, v4
	v_add_co_u32_e32 v29, vcc, -1, v5
	v_addc_co_u32_e64 v68, s[0:1], 0, -1, vcc
	v_cmp_ne_u32_e32 vcc, 0, v5
	v_xor_b32_e32 v29, vcc_lo, v29
	v_xor_b32_e32 v5, vcc_hi, v68
	v_and_b32_e32 v68, exec_lo, v29
	v_lshlrev_b32_e32 v29, 30, v4
	v_cmp_gt_i64_e32 vcc, 0, v[28:29]
	v_not_b32_e32 v29, v29
	v_ashrrev_i32_e32 v29, 31, v29
	v_xor_b32_e32 v69, vcc_hi, v29
	v_xor_b32_e32 v29, vcc_lo, v29
	v_and_b32_e32 v68, v68, v29
	v_lshlrev_b32_e32 v29, 29, v4
	v_cmp_gt_i64_e32 vcc, 0, v[28:29]
	v_not_b32_e32 v29, v29
	v_and_b32_e32 v5, exec_hi, v5
	v_ashrrev_i32_e32 v29, 31, v29
	v_and_b32_e32 v5, v5, v69
	v_xor_b32_e32 v69, vcc_hi, v29
	v_xor_b32_e32 v29, vcc_lo, v29
	v_and_b32_e32 v68, v68, v29
	v_lshlrev_b32_e32 v29, 28, v4
	v_cmp_gt_i64_e32 vcc, 0, v[28:29]
	v_not_b32_e32 v29, v29
	v_ashrrev_i32_e32 v29, 31, v29
	v_and_b32_e32 v5, v5, v69
	v_xor_b32_e32 v69, vcc_hi, v29
	v_xor_b32_e32 v29, vcc_lo, v29
	v_and_b32_e32 v68, v68, v29
	v_lshlrev_b32_e32 v29, 27, v4
	v_cmp_gt_i64_e32 vcc, 0, v[28:29]
	v_not_b32_e32 v29, v29
	;; [unrolled: 8-line block ×4, first 2 shown]
	v_ashrrev_i32_e32 v29, 31, v29
	v_and_b32_e32 v5, v5, v69
	v_xor_b32_e32 v69, vcc_hi, v29
	v_xor_b32_e32 v29, vcc_lo, v29
	v_and_b32_e32 v68, v68, v29
	v_lshlrev_b32_e32 v29, 24, v4
	v_not_b32_e32 v4, v29
	v_cmp_gt_i64_e32 vcc, 0, v[28:29]
	v_ashrrev_i32_e32 v4, 31, v4
	v_xor_b32_e32 v28, vcc_hi, v4
	v_xor_b32_e32 v4, vcc_lo, v4
	; wave barrier
	ds_read_b32 v66, v39 offset:16
	v_and_b32_e32 v5, v5, v69
	v_and_b32_e32 v4, v68, v4
	;; [unrolled: 1-line block ×3, first 2 shown]
	v_mbcnt_lo_u32_b32 v28, v4, 0
	v_mbcnt_hi_u32_b32 v68, v5, v28
	v_cmp_eq_u32_e32 vcc, 0, v68
	v_cmp_ne_u64_e64 s[0:1], 0, v[4:5]
	v_add_u32_e32 v67, 16, v31
	s_and_b64 s[2:3], s[0:1], vcc
	; wave barrier
	s_and_saveexec_b64 s[0:1], s[2:3]
	s_cbranch_execz .LBB15_154
; %bb.153:
	v_bcnt_u32_b32 v4, v4, 0
	v_bcnt_u32_b32 v4, v5, v4
	s_waitcnt lgkmcnt(0)
	v_add_u32_e32 v4, v66, v4
	ds_write_b32 v39, v4 offset:16
.LBB15_154:
	s_or_b64 exec, exec, s[0:1]
	; wave barrier
	s_waitcnt lgkmcnt(0)
	s_barrier
	ds_read2_b32 v[28:29], v31 offset0:4 offset1:5
	ds_read2_b32 v[4:5], v67 offset0:2 offset1:3
	ds_read_b32 v69, v67 offset:16
	v_min_u32_e32 v32, 0xc0, v32
	v_or_b32_e32 v32, 63, v32
	s_waitcnt lgkmcnt(1)
	v_add3_u32 v70, v29, v28, v4
	s_waitcnt lgkmcnt(0)
	v_add3_u32 v69, v70, v5, v69
	v_and_b32_e32 v70, 15, v3
	v_cmp_ne_u32_e32 vcc, 0, v70
	v_mov_b32_dpp v71, v69 row_shr:1 row_mask:0xf bank_mask:0xf
	v_cndmask_b32_e32 v71, 0, v71, vcc
	v_add_u32_e32 v69, v71, v69
	v_cmp_lt_u32_e32 vcc, 1, v70
	s_nop 0
	v_mov_b32_dpp v71, v69 row_shr:2 row_mask:0xf bank_mask:0xf
	v_cndmask_b32_e32 v71, 0, v71, vcc
	v_add_u32_e32 v69, v69, v71
	v_cmp_lt_u32_e32 vcc, 3, v70
	s_nop 0
	;; [unrolled: 5-line block ×3, first 2 shown]
	v_mov_b32_dpp v71, v69 row_shr:8 row_mask:0xf bank_mask:0xf
	v_cndmask_b32_e32 v70, 0, v71, vcc
	v_add_u32_e32 v69, v69, v70
	v_bfe_i32 v71, v3, 4, 1
	v_cmp_lt_u32_e32 vcc, 31, v3
	v_mov_b32_dpp v70, v69 row_bcast:15 row_mask:0xf bank_mask:0xf
	v_and_b32_e32 v70, v71, v70
	v_add_u32_e32 v69, v69, v70
	s_nop 1
	v_mov_b32_dpp v70, v69 row_bcast:31 row_mask:0xf bank_mask:0xf
	v_cndmask_b32_e32 v70, 0, v70, vcc
	v_add_u32_e32 v69, v69, v70
	v_lshrrev_b32_e32 v70, 6, v2
	v_cmp_eq_u32_e32 vcc, v32, v2
	s_and_saveexec_b64 s[0:1], vcc
	s_cbranch_execz .LBB15_156
; %bb.155:
	v_lshlrev_b32_e32 v32, 2, v70
	ds_write_b32 v32, v69
.LBB15_156:
	s_or_b64 exec, exec, s[0:1]
	v_cmp_gt_u32_e32 vcc, 4, v2
	s_waitcnt lgkmcnt(0)
	s_barrier
	s_and_saveexec_b64 s[0:1], vcc
	s_cbranch_execz .LBB15_158
; %bb.157:
	v_lshlrev_b32_e32 v32, 2, v2
	ds_read_b32 v71, v32
	v_and_b32_e32 v72, 3, v3
	v_cmp_ne_u32_e32 vcc, 0, v72
	s_waitcnt lgkmcnt(0)
	v_mov_b32_dpp v73, v71 row_shr:1 row_mask:0xf bank_mask:0xf
	v_cndmask_b32_e32 v73, 0, v73, vcc
	v_add_u32_e32 v71, v73, v71
	v_cmp_lt_u32_e32 vcc, 1, v72
	s_nop 0
	v_mov_b32_dpp v73, v71 row_shr:2 row_mask:0xf bank_mask:0xf
	v_cndmask_b32_e32 v72, 0, v73, vcc
	v_add_u32_e32 v71, v71, v72
	ds_write_b32 v32, v71
.LBB15_158:
	s_or_b64 exec, exec, s[0:1]
	v_cmp_lt_u32_e32 vcc, 63, v2
	v_mov_b32_e32 v32, 0
	s_waitcnt lgkmcnt(0)
	s_barrier
	s_and_saveexec_b64 s[0:1], vcc
	s_cbranch_execz .LBB15_160
; %bb.159:
	v_lshl_add_u32 v32, v70, 2, -4
	ds_read_b32 v32, v32
.LBB15_160:
	s_or_b64 exec, exec, s[0:1]
	v_add_u32_e32 v70, -1, v3
	v_and_b32_e32 v71, 64, v3
	v_cmp_lt_i32_e32 vcc, v70, v71
	v_cndmask_b32_e32 v70, v70, v3, vcc
	s_waitcnt lgkmcnt(0)
	v_add_u32_e32 v69, v32, v69
	v_lshlrev_b32_e32 v70, 2, v70
	ds_bpermute_b32 v69, v70, v69
	v_cmp_eq_u32_e32 vcc, 0, v3
	s_movk_i32 s0, 0x100
	s_waitcnt lgkmcnt(0)
	v_cndmask_b32_e32 v32, v69, v32, vcc
	v_cmp_ne_u32_e32 vcc, 0, v2
	v_cndmask_b32_e32 v32, 0, v32, vcc
	v_add_u32_e32 v28, v32, v28
	v_add_u32_e32 v29, v28, v29
	;; [unrolled: 1-line block ×4, first 2 shown]
	ds_write2_b32 v31, v32, v28 offset0:4 offset1:5
	ds_write2_b32 v67, v29, v4 offset0:2 offset1:3
	ds_write_b32 v67, v5 offset:16
	s_waitcnt lgkmcnt(0)
	s_barrier
	ds_read_b32 v29, v36 offset:16
	ds_read_b32 v32, v40 offset:16
	;; [unrolled: 1-line block ×13, first 2 shown]
	v_add_u32_e32 v31, 1, v2
	v_cmp_ne_u32_e32 vcc, s0, v31
	v_mov_b32_e32 v5, 0xc00
	s_and_saveexec_b64 s[0:1], vcc
	s_cbranch_execz .LBB15_162
; %bb.161:
	v_mul_u32_u24_e32 v5, 5, v31
	v_lshlrev_b32_e32 v5, 2, v5
	ds_read_b32 v5, v5 offset:16
.LBB15_162:
	s_or_b64 exec, exec, s[0:1]
	s_waitcnt lgkmcnt(1)
	v_add_u32_e32 v28, v28, v34
	v_add3_u32 v29, v37, v35, v29
	v_add3_u32 v31, v41, v38, v32
	v_lshlrev_b32_e32 v41, 3, v28
	s_waitcnt lgkmcnt(0)
	s_barrier
	ds_write_b64 v41, v[0:1] offset:2048
	v_lshlrev_b32_e32 v0, 3, v29
	v_add3_u32 v32, v44, v42, v36
	ds_write_b64 v0, v[6:7] offset:2048
	v_lshlrev_b32_e32 v0, 3, v31
	v_add3_u32 v33, v47, v45, v40
	;; [unrolled: 3-line block ×9, first 2 shown]
	ds_write_b64 v0, v[16:17] offset:2048
	v_lshlrev_b32_e32 v0, 3, v39
	ds_write_b64 v0, v[12:13] offset:2048
	v_lshlrev_b32_e32 v0, 3, v40
	ds_write_b64 v0, v[26:27] offset:2048
	v_lshl_add_u32 v0, s6, 8, v2
	v_mov_b32_e32 v1, 0
	v_lshlrev_b64 v[6:7], 2, v[0:1]
	v_sub_u32_e32 v12, v5, v4
	v_mov_b32_e32 v10, s73
	v_add_co_u32_e32 v6, vcc, s72, v6
	v_addc_co_u32_e32 v7, vcc, v10, v7, vcc
	v_or_b32_e32 v0, 2.0, v12
	s_mov_b64 s[0:1], 0
	s_brev_b32 s10, 1
	v_mov_b32_e32 v5, 0
	s_waitcnt lgkmcnt(0)
	s_barrier
	global_store_dword v[6:7], v0, off
                                        ; implicit-def: $sgpr2_sgpr3
	s_branch .LBB15_165
.LBB15_163:                             ;   in Loop: Header=BB15_165 Depth=1
	s_or_b64 exec, exec, s[4:5]
.LBB15_164:                             ;   in Loop: Header=BB15_165 Depth=1
	s_or_b64 exec, exec, s[2:3]
	v_and_b32_e32 v8, 0x3fffffff, v11
	v_add_u32_e32 v5, v8, v5
	v_cmp_eq_u32_e64 s[2:3], s10, v0
	s_and_b64 s[4:5], exec, s[2:3]
	s_or_b64 s[0:1], s[4:5], s[0:1]
	s_andn2_b64 exec, exec, s[0:1]
	s_cbranch_execz .LBB15_170
.LBB15_165:                             ; =>This Loop Header: Depth=1
                                        ;     Child Loop BB15_168 Depth 2
	s_or_b64 s[2:3], s[2:3], exec
	s_cmp_eq_u32 s7, 0
	s_cbranch_scc1 .LBB15_169
; %bb.166:                              ;   in Loop: Header=BB15_165 Depth=1
	s_add_i32 s7, s7, -1
	v_lshl_add_u32 v0, s7, 8, v2
	v_lshlrev_b64 v[8:9], 2, v[0:1]
	v_add_co_u32_e32 v8, vcc, s72, v8
	v_addc_co_u32_e32 v9, vcc, v10, v9, vcc
	global_load_dword v11, v[8:9], off glc
	s_waitcnt vmcnt(0)
	v_and_b32_e32 v0, -2.0, v11
	v_cmp_eq_u32_e32 vcc, 0, v0
	s_and_saveexec_b64 s[2:3], vcc
	s_cbranch_execz .LBB15_164
; %bb.167:                              ;   in Loop: Header=BB15_165 Depth=1
	s_mov_b64 s[4:5], 0
.LBB15_168:                             ;   Parent Loop BB15_165 Depth=1
                                        ; =>  This Inner Loop Header: Depth=2
	global_load_dword v11, v[8:9], off glc
	s_waitcnt vmcnt(0)
	v_and_b32_e32 v0, -2.0, v11
	v_cmp_ne_u32_e32 vcc, 0, v0
	s_or_b64 s[4:5], vcc, s[4:5]
	s_andn2_b64 exec, exec, s[4:5]
	s_cbranch_execnz .LBB15_168
	s_branch .LBB15_163
.LBB15_169:                             ;   in Loop: Header=BB15_165 Depth=1
                                        ; implicit-def: $sgpr7
	s_and_b64 s[4:5], exec, s[2:3]
	s_or_b64 s[0:1], s[4:5], s[0:1]
	s_andn2_b64 exec, exec, s[0:1]
	s_cbranch_execnz .LBB15_165
.LBB15_170:
	s_or_b64 exec, exec, s[0:1]
	v_add_u32_e32 v0, v5, v12
	v_or_b32_e32 v0, 0x80000000, v0
	global_store_dword v[6:7], v0, off
	v_lshlrev_b32_e32 v8, 3, v2
	global_load_dwordx2 v[0:1], v8, s[64:65]
	v_sub_co_u32_e32 v5, vcc, v5, v4
	v_subb_co_u32_e64 v6, s[0:1], 0, 0, vcc
	v_mov_b32_e32 v9, s59
	v_mov_b32_e32 v13, s59
	;; [unrolled: 1-line block ×4, first 2 shown]
	v_add_u32_e32 v53, 0x1000, v8
	s_add_u32 s0, s60, s54
	s_addc_u32 s1, s61, 0
	s_add_i32 s8, s8, -1
	s_cmp_eq_u32 s6, s8
	s_waitcnt vmcnt(0)
	v_add_co_u32_e32 v0, vcc, v5, v0
	v_addc_co_u32_e32 v1, vcc, v6, v1, vcc
	ds_write_b64 v8, v[0:1]
	s_waitcnt lgkmcnt(0)
	s_barrier
	ds_read2st64_b64 v[14:17], v8 offset0:4 offset1:8
	ds_read2st64_b64 v[18:21], v8 offset0:12 offset1:16
	;; [unrolled: 1-line block ×4, first 2 shown]
	v_add_u32_e32 v5, 0x1800, v8
	s_waitcnt lgkmcnt(2)
	v_lshrrev_b64 v[26:27], s68, v[20:21]
	v_lshrrev_b64 v[0:1], s68, v[14:15]
	v_xor_b32_e32 v7, 0x7fffffff, v15
	v_xor_b32_e32 v6, -1, v14
	v_lshrrev_b64 v[10:11], s68, v[16:17]
	v_xor_b32_e32 v15, 0x7fffffff, v17
	v_xor_b32_e32 v14, -1, v16
	v_lshrrev_b64 v[16:17], s68, v[18:19]
	s_waitcnt lgkmcnt(1)
	v_lshrrev_b64 v[46:47], s68, v[22:23]
	v_lshrrev_b64 v[48:49], s68, v[24:25]
	v_and_b32_e32 v0, s9, v0
	s_waitcnt lgkmcnt(0)
	v_lshrrev_b64 v[50:51], s68, v[42:43]
	v_and_b32_e32 v1, s9, v10
	v_and_b32_e32 v10, s9, v16
	;; [unrolled: 1-line block ×5, first 2 shown]
	v_lshlrev_b32_e32 v48, 3, v0
	v_and_b32_e32 v47, s9, v50
	v_lshlrev_b32_e32 v49, 3, v1
	v_lshlrev_b32_e32 v50, 3, v10
	;; [unrolled: 1-line block ×4, first 2 shown]
	ds_read_b64 v[0:1], v48
	ds_read_b64 v[10:11], v49
	;; [unrolled: 1-line block ×4, first 2 shown]
	v_xor_b32_e32 v19, 0x7fffffff, v19
	s_waitcnt lgkmcnt(3)
	v_lshlrev_b64 v[0:1], 3, v[0:1]
	v_add_co_u32_e32 v0, vcc, s58, v0
	s_waitcnt lgkmcnt(2)
	v_lshlrev_b64 v[10:11], 3, v[10:11]
	v_addc_co_u32_e32 v1, vcc, v9, v1, vcc
	v_add_co_u32_e32 v9, vcc, s58, v10
	s_waitcnt lgkmcnt(1)
	v_lshlrev_b64 v[16:17], 3, v[16:17]
	v_addc_co_u32_e32 v11, vcc, v13, v11, vcc
	;; [unrolled: 4-line block ×3, first 2 shown]
	v_add_co_u32_e32 v26, vcc, s58, v26
	v_addc_co_u32_e32 v27, vcc, v52, v27, vcc
	v_add_co_u32_e32 v0, vcc, v0, v8
	v_addc_co_u32_e32 v1, vcc, 0, v1, vcc
	v_add_co_u32_e32 v10, vcc, v9, v8
	v_addc_co_u32_e32 v11, vcc, 0, v11, vcc
	v_add_co_u32_e32 v16, vcc, v13, v53
	v_addc_co_u32_e32 v17, vcc, 0, v17, vcc
	v_add_co_u32_e32 v26, vcc, v26, v5
	v_xor_b32_e32 v18, -1, v18
	v_xor_b32_e32 v21, 0x7fffffff, v21
	v_xor_b32_e32 v20, -1, v20
	v_addc_co_u32_e32 v27, vcc, 0, v27, vcc
	global_store_dwordx2 v[0:1], v[6:7], off
	global_store_dwordx2 v[10:11], v[14:15], off offset:2048
	global_store_dwordx2 v[16:17], v[18:19], off
	global_store_dwordx2 v[26:27], v[20:21], off
	v_lshrrev_b64 v[0:1], s68, v[44:45]
	v_and_b32_e32 v5, s9, v0
	ds_read_b64 v[0:1], v54
	v_lshlrev_b32_e32 v46, 3, v46
	v_lshlrev_b32_e32 v9, 3, v47
	v_lshlrev_b32_e32 v13, 3, v5
	ds_read_b64 v[6:7], v46
	ds_read_b64 v[10:11], v9
	;; [unrolled: 1-line block ×3, first 2 shown]
	s_waitcnt lgkmcnt(3)
	v_lshlrev_b64 v[0:1], 3, v[0:1]
	v_mov_b32_e32 v5, s59
	v_add_co_u32_e32 v0, vcc, s58, v0
	v_addc_co_u32_e32 v1, vcc, v5, v1, vcc
	v_or_b32_e32 v5, 0x2000, v8
	v_add_co_u32_e32 v0, vcc, v0, v5
	v_addc_co_u32_e32 v1, vcc, 0, v1, vcc
	s_waitcnt lgkmcnt(2)
	v_lshlrev_b64 v[6:7], 3, v[6:7]
	v_mov_b32_e32 v5, s59
	v_add_co_u32_e32 v6, vcc, s58, v6
	v_addc_co_u32_e32 v5, vcc, v5, v7, vcc
	v_add_u32_e32 v7, 0x2800, v8
	v_xor_b32_e32 v23, 0x7fffffff, v23
	v_xor_b32_e32 v22, -1, v22
	v_add_co_u32_e32 v6, vcc, v6, v7
	global_store_dwordx2 v[0:1], v[22:23], off
	v_xor_b32_e32 v1, 0x7fffffff, v25
	v_xor_b32_e32 v0, -1, v24
	v_addc_co_u32_e32 v7, vcc, 0, v5, vcc
	global_store_dwordx2 v[6:7], v[0:1], off
	s_waitcnt lgkmcnt(1)
	v_lshlrev_b64 v[6:7], 3, v[10:11]
	v_mov_b32_e32 v5, s59
	v_add_co_u32_e32 v6, vcc, s58, v6
	v_addc_co_u32_e32 v5, vcc, v5, v7, vcc
	v_add_u32_e32 v7, 0x3000, v8
	v_add_co_u32_e32 v6, vcc, v6, v7
	v_xor_b32_e32 v1, 0x7fffffff, v43
	v_xor_b32_e32 v0, -1, v42
	v_addc_co_u32_e32 v7, vcc, 0, v5, vcc
	global_store_dwordx2 v[6:7], v[0:1], off
	s_waitcnt lgkmcnt(0)
	v_lshlrev_b64 v[6:7], 3, v[14:15]
	ds_read2st64_b64 v[14:17], v8 offset0:36 offset1:40
	v_mov_b32_e32 v5, s59
	v_add_co_u32_e32 v6, vcc, s58, v6
	v_addc_co_u32_e32 v5, vcc, v5, v7, vcc
	v_add_u32_e32 v7, 0x3800, v8
	ds_read2st64_b64 v[18:21], v8 offset0:44 offset1:48
	v_add_co_u32_e32 v6, vcc, v6, v7
	v_xor_b32_e32 v1, 0x7fffffff, v45
	v_xor_b32_e32 v0, -1, v44
	v_addc_co_u32_e32 v7, vcc, 0, v5, vcc
	global_store_dwordx2 v[6:7], v[0:1], off
	s_waitcnt lgkmcnt(1)
	v_lshrrev_b64 v[0:1], s68, v[14:15]
	v_and_b32_e32 v5, s9, v0
	v_lshrrev_b64 v[6:7], s68, v[16:17]
	v_lshlrev_b32_e32 v24, 3, v5
	v_and_b32_e32 v5, s9, v6
	s_waitcnt lgkmcnt(0)
	v_lshrrev_b64 v[6:7], s68, v[18:19]
	v_lshlrev_b32_e32 v25, 3, v5
	v_and_b32_e32 v5, s9, v6
	v_lshrrev_b64 v[6:7], s68, v[20:21]
	v_lshlrev_b32_e32 v26, 3, v5
	v_and_b32_e32 v5, s9, v6
	ds_read_b64 v[6:7], v24
	v_lshlrev_b32_e32 v27, 3, v5
	v_mov_b32_e32 v5, s59
	v_xor_b32_e32 v1, 0x7fffffff, v15
	v_xor_b32_e32 v0, -1, v14
	s_waitcnt lgkmcnt(0)
	v_lshlrev_b64 v[6:7], 3, v[6:7]
	v_add_co_u32_e32 v6, vcc, s58, v6
	ds_read_b64 v[10:11], v25
	ds_read_b64 v[14:15], v26
	;; [unrolled: 1-line block ×3, first 2 shown]
	v_addc_co_u32_e32 v5, vcc, v5, v7, vcc
	v_or_b32_e32 v7, 0x4000, v8
	v_add_co_u32_e32 v6, vcc, v6, v7
	v_addc_co_u32_e32 v7, vcc, 0, v5, vcc
	global_store_dwordx2 v[6:7], v[0:1], off
	s_waitcnt lgkmcnt(2)
	v_lshlrev_b64 v[6:7], 3, v[10:11]
	v_mov_b32_e32 v5, s59
	v_add_co_u32_e32 v6, vcc, s58, v6
	v_addc_co_u32_e32 v5, vcc, v5, v7, vcc
	v_add_u32_e32 v7, 0x4800, v8
	v_add_co_u32_e32 v6, vcc, v6, v7
	v_xor_b32_e32 v1, 0x7fffffff, v17
	v_xor_b32_e32 v0, -1, v16
	v_addc_co_u32_e32 v7, vcc, 0, v5, vcc
	global_store_dwordx2 v[6:7], v[0:1], off
	s_waitcnt lgkmcnt(1)
	v_lshlrev_b64 v[6:7], 3, v[14:15]
	v_mov_b32_e32 v5, s59
	v_add_co_u32_e32 v6, vcc, s58, v6
	v_addc_co_u32_e32 v5, vcc, v5, v7, vcc
	v_add_u32_e32 v7, 0x5000, v8
	v_add_co_u32_e32 v6, vcc, v6, v7
	v_xor_b32_e32 v1, 0x7fffffff, v19
	v_xor_b32_e32 v0, -1, v18
	;; [unrolled: 11-line block ×3, first 2 shown]
	v_addc_co_u32_e32 v7, vcc, 0, v5, vcc
	global_store_dwordx2 v[6:7], v[0:1], off
	v_mov_b32_e32 v0, s1
	v_add_co_u32_e32 v1, vcc, s0, v3
	v_addc_co_u32_e32 v3, vcc, 0, v0, vcc
	v_add_co_u32_e32 v0, vcc, v1, v30
	v_addc_co_u32_e32 v1, vcc, 0, v3, vcc
	global_load_ubyte v6, v[0:1], off
	global_load_ubyte v7, v[0:1], off offset:64
	global_load_ubyte v10, v[0:1], off offset:128
	;; [unrolled: 1-line block ×11, first 2 shown]
	s_barrier
	s_waitcnt vmcnt(11)
	ds_write_b8 v28, v6 offset:2048
	s_waitcnt vmcnt(10)
	ds_write_b8 v29, v7 offset:2048
	;; [unrolled: 2-line block ×12, first 2 shown]
	s_waitcnt lgkmcnt(0)
	s_barrier
	ds_read_b64 v[0:1], v48
	ds_read_b64 v[6:7], v49
	;; [unrolled: 1-line block ×4, first 2 shown]
	v_mov_b32_e32 v16, s63
	s_waitcnt lgkmcnt(3)
	v_add_co_u32_e32 v0, vcc, s62, v0
	v_addc_co_u32_e32 v1, vcc, v16, v1, vcc
	v_add_co_u32_e32 v0, vcc, v0, v2
	v_addc_co_u32_e32 v1, vcc, 0, v1, vcc
	ds_read_u8 v16, v2 offset:2048
	ds_read_u8 v17, v2 offset:2304
	;; [unrolled: 1-line block ×8, first 2 shown]
	s_waitcnt lgkmcnt(7)
	global_store_byte v[0:1], v16, off
	v_mov_b32_e32 v0, s63
	v_add_co_u32_e32 v1, vcc, s62, v6
	v_addc_co_u32_e32 v6, vcc, v0, v7, vcc
	v_add_co_u32_e32 v0, vcc, v1, v2
	v_addc_co_u32_e32 v1, vcc, 0, v6, vcc
	s_waitcnt lgkmcnt(6)
	global_store_byte v[0:1], v17, off offset:256
	v_mov_b32_e32 v0, s63
	v_add_co_u32_e32 v1, vcc, s62, v10
	v_addc_co_u32_e32 v6, vcc, v0, v11, vcc
	v_add_co_u32_e32 v0, vcc, v1, v2
	v_addc_co_u32_e32 v1, vcc, 0, v6, vcc
	s_waitcnt lgkmcnt(5)
	global_store_byte v[0:1], v18, off offset:512
	;; [unrolled: 7-line block ×3, first 2 shown]
	ds_read_b64 v[0:1], v54
	ds_read_b64 v[6:7], v46
	;; [unrolled: 1-line block ×4, first 2 shown]
	v_mov_b32_e32 v16, s63
	s_waitcnt lgkmcnt(3)
	v_add_co_u32_e32 v0, vcc, s62, v0
	v_addc_co_u32_e32 v1, vcc, v16, v1, vcc
	v_add_co_u32_e32 v0, vcc, v0, v2
	v_addc_co_u32_e32 v1, vcc, 0, v1, vcc
	global_store_byte v[0:1], v20, off offset:1024
	v_mov_b32_e32 v0, s63
	s_waitcnt lgkmcnt(2)
	v_add_co_u32_e32 v1, vcc, s62, v6
	v_addc_co_u32_e32 v6, vcc, v0, v7, vcc
	v_add_co_u32_e32 v0, vcc, v1, v2
	v_addc_co_u32_e32 v1, vcc, 0, v6, vcc
	global_store_byte v[0:1], v21, off offset:1280
	;; [unrolled: 7-line block ×4, first 2 shown]
	ds_read_u8 v9, v2 offset:4096
	ds_read_b64 v[0:1], v24
	ds_read_b64 v[6:7], v25
	;; [unrolled: 1-line block ×4, first 2 shown]
	v_mov_b32_e32 v13, s63
	s_waitcnt lgkmcnt(3)
	v_add_co_u32_e32 v0, vcc, s62, v0
	v_addc_co_u32_e32 v1, vcc, v13, v1, vcc
	v_add_co_u32_e32 v0, vcc, v0, v2
	v_addc_co_u32_e32 v1, vcc, 0, v1, vcc
	ds_read_u8 v13, v2 offset:4352
	ds_read_u8 v16, v2 offset:4608
	;; [unrolled: 1-line block ×3, first 2 shown]
	global_store_byte v[0:1], v9, off offset:2048
	v_mov_b32_e32 v0, s63
	s_waitcnt lgkmcnt(5)
	v_add_co_u32_e32 v1, vcc, s62, v6
	v_addc_co_u32_e32 v6, vcc, v0, v7, vcc
	v_add_co_u32_e32 v0, vcc, v1, v2
	v_addc_co_u32_e32 v1, vcc, 0, v6, vcc
	s_waitcnt lgkmcnt(2)
	global_store_byte v[0:1], v13, off offset:2304
	v_mov_b32_e32 v0, s63
	v_add_co_u32_e32 v1, vcc, s62, v10
	v_addc_co_u32_e32 v6, vcc, v0, v11, vcc
	v_add_co_u32_e32 v0, vcc, v1, v2
	v_addc_co_u32_e32 v1, vcc, 0, v6, vcc
	s_waitcnt lgkmcnt(1)
	global_store_byte v[0:1], v16, off offset:2560
	v_mov_b32_e32 v0, s63
	v_add_co_u32_e32 v1, vcc, s62, v14
	v_addc_co_u32_e32 v6, vcc, v0, v15, vcc
	v_mov_b32_e32 v3, 0
	v_add_co_u32_e32 v0, vcc, v1, v2
	v_mov_b32_e32 v5, v3
	v_addc_co_u32_e32 v1, vcc, 0, v6, vcc
	s_cselect_b64 s[0:1], -1, 0
	s_waitcnt lgkmcnt(0)
	global_store_byte v[0:1], v17, off offset:2816
.LBB15_171:
	s_and_b64 vcc, exec, s[0:1]
	s_cbranch_vccnz .LBB15_173
; %bb.172:
	s_endpgm
.LBB15_173:
	v_lshlrev_b64 v[0:1], 3, v[2:3]
	ds_read_b64 v[2:3], v8
	v_add_co_u32_e32 v4, vcc, v4, v12
	v_addc_co_u32_e32 v5, vcc, 0, v5, vcc
	v_mov_b32_e32 v6, s67
	v_add_co_u32_e32 v0, vcc, s66, v0
	v_addc_co_u32_e32 v1, vcc, v6, v1, vcc
	s_waitcnt lgkmcnt(0)
	v_add_co_u32_e32 v2, vcc, v4, v2
	v_addc_co_u32_e32 v3, vcc, v5, v3, vcc
	global_store_dwordx2 v[0:1], v[2:3], off
	s_endpgm
.LBB15_174:
	global_load_ubyte v9, v[6:7], off
	s_or_b64 exec, exec, s[0:1]
                                        ; implicit-def: $vgpr10
	s_and_saveexec_b64 s[0:1], s[2:3]
	s_cbranch_execz .LBB15_91
.LBB15_175:
	global_load_ubyte v10, v[6:7], off offset:64
	s_or_b64 exec, exec, s[0:1]
                                        ; implicit-def: $vgpr11
	s_and_saveexec_b64 s[0:1], s[50:51]
	s_cbranch_execz .LBB15_92
.LBB15_176:
	global_load_ubyte v11, v[6:7], off offset:128
	s_or_b64 exec, exec, s[0:1]
                                        ; implicit-def: $vgpr13
	s_and_saveexec_b64 s[0:1], s[8:9]
	s_cbranch_execz .LBB15_93
.LBB15_177:
	global_load_ubyte v13, v[6:7], off offset:192
	s_or_b64 exec, exec, s[0:1]
                                        ; implicit-def: $vgpr14
	s_and_saveexec_b64 s[0:1], s[10:11]
	s_cbranch_execz .LBB15_94
.LBB15_178:
	global_load_ubyte v14, v[6:7], off offset:256
	s_or_b64 exec, exec, s[0:1]
                                        ; implicit-def: $vgpr15
	s_and_saveexec_b64 s[0:1], s[12:13]
	s_cbranch_execz .LBB15_95
.LBB15_179:
	global_load_ubyte v15, v[6:7], off offset:320
	s_or_b64 exec, exec, s[0:1]
                                        ; implicit-def: $vgpr16
	s_and_saveexec_b64 s[0:1], s[14:15]
	s_cbranch_execz .LBB15_96
.LBB15_180:
	global_load_ubyte v16, v[6:7], off offset:384
	s_or_b64 exec, exec, s[0:1]
                                        ; implicit-def: $vgpr19
	s_and_saveexec_b64 s[0:1], s[16:17]
	s_cbranch_execz .LBB15_97
.LBB15_181:
	global_load_ubyte v19, v[6:7], off offset:448
	s_or_b64 exec, exec, s[0:1]
                                        ; implicit-def: $vgpr21
	s_and_saveexec_b64 s[0:1], s[18:19]
	s_cbranch_execz .LBB15_98
.LBB15_182:
	global_load_ubyte v21, v[6:7], off offset:512
	s_or_b64 exec, exec, s[0:1]
                                        ; implicit-def: $vgpr24
	s_and_saveexec_b64 s[0:1], s[20:21]
	s_cbranch_execz .LBB15_99
.LBB15_183:
	global_load_ubyte v24, v[6:7], off offset:576
	s_or_b64 exec, exec, s[0:1]
                                        ; implicit-def: $vgpr27
	s_and_saveexec_b64 s[0:1], s[22:23]
	s_cbranch_execz .LBB15_100
.LBB15_184:
	global_load_ubyte v27, v[6:7], off offset:640
	s_or_b64 exec, exec, s[0:1]
                                        ; implicit-def: $vgpr32
	s_and_saveexec_b64 s[0:1], s[24:25]
	s_cbranch_execz .LBB15_101
.LBB15_185:
	global_load_ubyte v32, v[6:7], off offset:704
	s_or_b64 exec, exec, s[0:1]
                                        ; implicit-def: $vgpr33
	s_and_saveexec_b64 s[0:1], vcc
	s_cbranch_execz .LBB15_102
.LBB15_186:
	ds_read_b64 v[6:7], v8 offset:2048
	s_waitcnt lgkmcnt(0)
	v_lshrrev_b64 v[6:7], s68, v[6:7]
	v_and_b32_e32 v33, s55, v6
	s_or_b64 exec, exec, s[0:1]
                                        ; implicit-def: $vgpr29
	s_and_saveexec_b64 s[0:1], s[26:27]
	s_cbranch_execz .LBB15_103
.LBB15_187:
	v_lshlrev_b32_e32 v6, 3, v2
	ds_read_b64 v[6:7], v6 offset:4096
	s_waitcnt lgkmcnt(0)
	v_lshrrev_b64 v[6:7], s68, v[6:7]
	v_and_b32_e32 v29, s55, v6
	s_or_b64 exec, exec, s[0:1]
                                        ; implicit-def: $vgpr28
	s_and_saveexec_b64 s[0:1], s[28:29]
	s_cbranch_execz .LBB15_104
.LBB15_188:
	v_lshlrev_b32_e32 v6, 3, v2
	ds_read_b64 v[6:7], v6 offset:6144
	s_waitcnt lgkmcnt(0)
	v_lshrrev_b64 v[6:7], s68, v[6:7]
	v_and_b32_e32 v28, s55, v6
	s_or_b64 exec, exec, s[0:1]
                                        ; implicit-def: $vgpr26
	s_and_saveexec_b64 s[0:1], s[30:31]
	s_cbranch_execz .LBB15_105
.LBB15_189:
	v_lshlrev_b32_e32 v6, 3, v2
	ds_read_b64 v[6:7], v6 offset:8192
	s_waitcnt lgkmcnt(0)
	v_lshrrev_b64 v[6:7], s68, v[6:7]
	v_and_b32_e32 v26, s55, v6
	s_or_b64 exec, exec, s[0:1]
                                        ; implicit-def: $vgpr25
	s_and_saveexec_b64 s[0:1], s[34:35]
	s_cbranch_execz .LBB15_106
.LBB15_190:
	v_lshlrev_b32_e32 v6, 3, v2
	ds_read_b64 v[6:7], v6 offset:10240
	s_waitcnt lgkmcnt(0)
	v_lshrrev_b64 v[6:7], s68, v[6:7]
	v_and_b32_e32 v25, s55, v6
	s_or_b64 exec, exec, s[0:1]
                                        ; implicit-def: $vgpr23
	s_and_saveexec_b64 s[0:1], s[36:37]
	s_cbranch_execz .LBB15_107
.LBB15_191:
	v_lshlrev_b32_e32 v6, 3, v2
	ds_read_b64 v[6:7], v6 offset:12288
	s_waitcnt lgkmcnt(0)
	v_lshrrev_b64 v[6:7], s68, v[6:7]
	v_and_b32_e32 v23, s55, v6
	s_or_b64 exec, exec, s[0:1]
                                        ; implicit-def: $vgpr22
	s_and_saveexec_b64 s[0:1], s[38:39]
	s_cbranch_execz .LBB15_108
.LBB15_192:
	v_lshlrev_b32_e32 v6, 3, v2
	ds_read_b64 v[6:7], v6 offset:14336
	s_waitcnt lgkmcnt(0)
	v_lshrrev_b64 v[6:7], s68, v[6:7]
	v_and_b32_e32 v22, s55, v6
	s_or_b64 exec, exec, s[0:1]
                                        ; implicit-def: $vgpr20
	s_and_saveexec_b64 s[0:1], s[40:41]
	s_cbranch_execz .LBB15_109
.LBB15_193:
	v_lshlrev_b32_e32 v6, 3, v2
	ds_read_b64 v[6:7], v6 offset:16384
	s_waitcnt lgkmcnt(0)
	v_lshrrev_b64 v[6:7], s68, v[6:7]
	v_and_b32_e32 v20, s55, v6
	s_or_b64 exec, exec, s[0:1]
                                        ; implicit-def: $vgpr18
	s_and_saveexec_b64 s[0:1], s[42:43]
	s_cbranch_execnz .LBB15_110
	s_branch .LBB15_111
.LBB15_194:
	v_lshlrev_b32_e32 v7, 3, v2
	ds_read_b64 v[44:45], v7 offset:20480
	s_waitcnt lgkmcnt(0)
	v_lshrrev_b64 v[44:45], s68, v[44:45]
	v_and_b32_e32 v17, s55, v44
	s_or_b64 exec, exec, s[0:1]
	s_and_saveexec_b64 s[0:1], s[46:47]
	s_cbranch_execz .LBB15_113
.LBB15_195:
	v_lshlrev_b32_e32 v6, 3, v2
	ds_read_b64 v[6:7], v6 offset:22528
	s_waitcnt lgkmcnt(0)
	v_lshrrev_b64 v[6:7], s68, v[6:7]
	v_and_b32_e32 v6, s55, v6
	s_or_b64 exec, exec, s[0:1]
	v_mov_b32_e32 v7, 0
	s_and_saveexec_b64 s[0:1], s[48:49]
	s_cbranch_execnz .LBB15_114
	s_branch .LBB15_115
.LBB15_196:
	v_lshlrev_b32_e32 v9, 3, v33
	ds_read_b64 v[10:11], v9
	ds_read_u8 v9, v2 offset:2048
	v_mov_b32_e32 v13, s63
	s_waitcnt lgkmcnt(1)
	v_add_co_u32_e32 v10, vcc, s62, v10
	v_addc_co_u32_e32 v11, vcc, v13, v11, vcc
	v_add_co_u32_e32 v10, vcc, v10, v2
	v_addc_co_u32_e32 v11, vcc, 0, v11, vcc
	s_waitcnt lgkmcnt(0)
	global_store_byte v[10:11], v9, off
	s_or_b64 exec, exec, s[0:1]
	s_and_saveexec_b64 s[0:1], s[26:27]
	s_cbranch_execz .LBB15_117
.LBB15_197:
	v_lshlrev_b32_e32 v9, 3, v29
	ds_read_b64 v[10:11], v9
	ds_read_u8 v9, v2 offset:2304
	v_mov_b32_e32 v13, s63
	s_waitcnt lgkmcnt(1)
	v_add_co_u32_e32 v10, vcc, s62, v10
	v_addc_co_u32_e32 v11, vcc, v13, v11, vcc
	v_add_co_u32_e32 v10, vcc, v10, v2
	v_addc_co_u32_e32 v11, vcc, 0, v11, vcc
	s_waitcnt lgkmcnt(0)
	global_store_byte v[10:11], v9, off offset:256
	s_or_b64 exec, exec, s[0:1]
	s_and_saveexec_b64 s[0:1], s[28:29]
	s_cbranch_execz .LBB15_118
.LBB15_198:
	v_lshlrev_b32_e32 v9, 3, v28
	ds_read_b64 v[10:11], v9
	ds_read_u8 v9, v2 offset:2560
	v_mov_b32_e32 v13, s63
	s_waitcnt lgkmcnt(1)
	v_add_co_u32_e32 v10, vcc, s62, v10
	v_addc_co_u32_e32 v11, vcc, v13, v11, vcc
	v_add_co_u32_e32 v10, vcc, v10, v2
	v_addc_co_u32_e32 v11, vcc, 0, v11, vcc
	s_waitcnt lgkmcnt(0)
	global_store_byte v[10:11], v9, off offset:512
	s_or_b64 exec, exec, s[0:1]
	s_and_saveexec_b64 s[0:1], s[30:31]
	s_cbranch_execz .LBB15_119
.LBB15_199:
	v_lshlrev_b32_e32 v9, 3, v26
	ds_read_b64 v[10:11], v9
	ds_read_u8 v9, v2 offset:2816
	v_mov_b32_e32 v13, s63
	s_waitcnt lgkmcnt(1)
	v_add_co_u32_e32 v10, vcc, s62, v10
	v_addc_co_u32_e32 v11, vcc, v13, v11, vcc
	v_add_co_u32_e32 v10, vcc, v10, v2
	v_addc_co_u32_e32 v11, vcc, 0, v11, vcc
	s_waitcnt lgkmcnt(0)
	global_store_byte v[10:11], v9, off offset:768
	s_or_b64 exec, exec, s[0:1]
	s_and_saveexec_b64 s[0:1], s[34:35]
	s_cbranch_execz .LBB15_120
.LBB15_200:
	v_lshlrev_b32_e32 v9, 3, v25
	ds_read_b64 v[10:11], v9
	ds_read_u8 v9, v2 offset:3072
	v_mov_b32_e32 v13, s63
	s_waitcnt lgkmcnt(1)
	v_add_co_u32_e32 v10, vcc, s62, v10
	v_addc_co_u32_e32 v11, vcc, v13, v11, vcc
	v_add_co_u32_e32 v10, vcc, v10, v2
	v_addc_co_u32_e32 v11, vcc, 0, v11, vcc
	s_waitcnt lgkmcnt(0)
	global_store_byte v[10:11], v9, off offset:1024
	s_or_b64 exec, exec, s[0:1]
	s_and_saveexec_b64 s[0:1], s[36:37]
	s_cbranch_execz .LBB15_121
.LBB15_201:
	v_lshlrev_b32_e32 v9, 3, v23
	ds_read_b64 v[10:11], v9
	ds_read_u8 v9, v2 offset:3328
	v_mov_b32_e32 v13, s63
	s_waitcnt lgkmcnt(1)
	v_add_co_u32_e32 v10, vcc, s62, v10
	v_addc_co_u32_e32 v11, vcc, v13, v11, vcc
	v_add_co_u32_e32 v10, vcc, v10, v2
	v_addc_co_u32_e32 v11, vcc, 0, v11, vcc
	s_waitcnt lgkmcnt(0)
	global_store_byte v[10:11], v9, off offset:1280
	s_or_b64 exec, exec, s[0:1]
	s_and_saveexec_b64 s[0:1], s[38:39]
	s_cbranch_execz .LBB15_122
.LBB15_202:
	v_lshlrev_b32_e32 v9, 3, v22
	ds_read_b64 v[10:11], v9
	ds_read_u8 v9, v2 offset:3584
	v_mov_b32_e32 v13, s63
	s_waitcnt lgkmcnt(1)
	v_add_co_u32_e32 v10, vcc, s62, v10
	v_addc_co_u32_e32 v11, vcc, v13, v11, vcc
	v_add_co_u32_e32 v10, vcc, v10, v2
	v_addc_co_u32_e32 v11, vcc, 0, v11, vcc
	s_waitcnt lgkmcnt(0)
	global_store_byte v[10:11], v9, off offset:1536
	s_or_b64 exec, exec, s[0:1]
	s_and_saveexec_b64 s[0:1], s[40:41]
	s_cbranch_execz .LBB15_123
.LBB15_203:
	v_lshlrev_b32_e32 v9, 3, v20
	ds_read_b64 v[10:11], v9
	ds_read_u8 v9, v2 offset:3840
	v_mov_b32_e32 v13, s63
	s_waitcnt lgkmcnt(1)
	v_add_co_u32_e32 v10, vcc, s62, v10
	v_addc_co_u32_e32 v11, vcc, v13, v11, vcc
	v_add_co_u32_e32 v10, vcc, v10, v2
	v_addc_co_u32_e32 v11, vcc, 0, v11, vcc
	s_waitcnt lgkmcnt(0)
	global_store_byte v[10:11], v9, off offset:1792
	s_or_b64 exec, exec, s[0:1]
	s_and_saveexec_b64 s[0:1], s[42:43]
	s_cbranch_execz .LBB15_124
.LBB15_204:
	v_lshlrev_b32_e32 v9, 3, v18
	ds_read_b64 v[10:11], v9
	ds_read_u8 v9, v2 offset:4096
	v_mov_b32_e32 v13, s63
	s_waitcnt lgkmcnt(1)
	v_add_co_u32_e32 v10, vcc, s62, v10
	v_addc_co_u32_e32 v11, vcc, v13, v11, vcc
	v_add_co_u32_e32 v10, vcc, v10, v2
	v_addc_co_u32_e32 v11, vcc, 0, v11, vcc
	s_waitcnt lgkmcnt(0)
	global_store_byte v[10:11], v9, off offset:2048
	s_or_b64 exec, exec, s[0:1]
	s_and_saveexec_b64 s[0:1], s[44:45]
	s_cbranch_execz .LBB15_125
.LBB15_205:
	v_lshlrev_b32_e32 v9, 3, v17
	ds_read_b64 v[10:11], v9
	ds_read_u8 v9, v2 offset:4352
	v_mov_b32_e32 v13, s63
	s_waitcnt lgkmcnt(1)
	v_add_co_u32_e32 v10, vcc, s62, v10
	v_addc_co_u32_e32 v11, vcc, v13, v11, vcc
	v_add_co_u32_e32 v10, vcc, v10, v2
	v_addc_co_u32_e32 v11, vcc, 0, v11, vcc
	s_waitcnt lgkmcnt(0)
	global_store_byte v[10:11], v9, off offset:2304
	s_or_b64 exec, exec, s[0:1]
	s_and_saveexec_b64 s[0:1], s[46:47]
	s_cbranch_execz .LBB15_126
.LBB15_206:
	v_lshlrev_b32_e32 v6, 3, v6
	ds_read_b64 v[10:11], v6
	ds_read_u8 v6, v2 offset:4608
	v_mov_b32_e32 v9, s63
	s_waitcnt lgkmcnt(1)
	v_add_co_u32_e32 v10, vcc, s62, v10
	v_addc_co_u32_e32 v9, vcc, v9, v11, vcc
	v_add_co_u32_e32 v10, vcc, v10, v2
	v_addc_co_u32_e32 v11, vcc, 0, v9, vcc
	s_waitcnt lgkmcnt(0)
	global_store_byte v[10:11], v6, off offset:2560
	s_or_b64 exec, exec, s[0:1]
	s_and_saveexec_b64 s[0:1], s[48:49]
	s_cbranch_execnz .LBB15_127
	s_branch .LBB15_128
	.section	.rodata,"a",@progbits
	.p2align	6, 0x0
	.amdhsa_kernel _ZN7rocprim17ROCPRIM_304000_NS6detail25onesweep_iteration_kernelINS1_34wrapped_radix_sort_onesweep_configINS0_14default_configElN2at4cuda3cub6detail10OpaqueTypeILi1EEEEELb1EPlSC_PSA_SD_mNS0_19identity_decomposerEEEvT1_T2_T3_T4_jPT5_SK_PNS1_23onesweep_lookback_stateET6_jjj
		.amdhsa_group_segment_fixed_size 26624
		.amdhsa_private_segment_fixed_size 0
		.amdhsa_kernarg_size 336
		.amdhsa_user_sgpr_count 6
		.amdhsa_user_sgpr_private_segment_buffer 1
		.amdhsa_user_sgpr_dispatch_ptr 0
		.amdhsa_user_sgpr_queue_ptr 0
		.amdhsa_user_sgpr_kernarg_segment_ptr 1
		.amdhsa_user_sgpr_dispatch_id 0
		.amdhsa_user_sgpr_flat_scratch_init 0
		.amdhsa_user_sgpr_kernarg_preload_length 0
		.amdhsa_user_sgpr_kernarg_preload_offset 0
		.amdhsa_user_sgpr_private_segment_size 0
		.amdhsa_uses_dynamic_stack 0
		.amdhsa_system_sgpr_private_segment_wavefront_offset 0
		.amdhsa_system_sgpr_workgroup_id_x 1
		.amdhsa_system_sgpr_workgroup_id_y 0
		.amdhsa_system_sgpr_workgroup_id_z 0
		.amdhsa_system_sgpr_workgroup_info 0
		.amdhsa_system_vgpr_workitem_id 2
		.amdhsa_next_free_vgpr 76
		.amdhsa_next_free_sgpr 74
		.amdhsa_accum_offset 76
		.amdhsa_reserve_vcc 1
		.amdhsa_reserve_flat_scratch 0
		.amdhsa_float_round_mode_32 0
		.amdhsa_float_round_mode_16_64 0
		.amdhsa_float_denorm_mode_32 3
		.amdhsa_float_denorm_mode_16_64 3
		.amdhsa_dx10_clamp 1
		.amdhsa_ieee_mode 1
		.amdhsa_fp16_overflow 0
		.amdhsa_tg_split 0
		.amdhsa_exception_fp_ieee_invalid_op 0
		.amdhsa_exception_fp_denorm_src 0
		.amdhsa_exception_fp_ieee_div_zero 0
		.amdhsa_exception_fp_ieee_overflow 0
		.amdhsa_exception_fp_ieee_underflow 0
		.amdhsa_exception_fp_ieee_inexact 0
		.amdhsa_exception_int_div_zero 0
	.end_amdhsa_kernel
	.section	.text._ZN7rocprim17ROCPRIM_304000_NS6detail25onesweep_iteration_kernelINS1_34wrapped_radix_sort_onesweep_configINS0_14default_configElN2at4cuda3cub6detail10OpaqueTypeILi1EEEEELb1EPlSC_PSA_SD_mNS0_19identity_decomposerEEEvT1_T2_T3_T4_jPT5_SK_PNS1_23onesweep_lookback_stateET6_jjj,"axG",@progbits,_ZN7rocprim17ROCPRIM_304000_NS6detail25onesweep_iteration_kernelINS1_34wrapped_radix_sort_onesweep_configINS0_14default_configElN2at4cuda3cub6detail10OpaqueTypeILi1EEEEELb1EPlSC_PSA_SD_mNS0_19identity_decomposerEEEvT1_T2_T3_T4_jPT5_SK_PNS1_23onesweep_lookback_stateET6_jjj,comdat
.Lfunc_end15:
	.size	_ZN7rocprim17ROCPRIM_304000_NS6detail25onesweep_iteration_kernelINS1_34wrapped_radix_sort_onesweep_configINS0_14default_configElN2at4cuda3cub6detail10OpaqueTypeILi1EEEEELb1EPlSC_PSA_SD_mNS0_19identity_decomposerEEEvT1_T2_T3_T4_jPT5_SK_PNS1_23onesweep_lookback_stateET6_jjj, .Lfunc_end15-_ZN7rocprim17ROCPRIM_304000_NS6detail25onesweep_iteration_kernelINS1_34wrapped_radix_sort_onesweep_configINS0_14default_configElN2at4cuda3cub6detail10OpaqueTypeILi1EEEEELb1EPlSC_PSA_SD_mNS0_19identity_decomposerEEEvT1_T2_T3_T4_jPT5_SK_PNS1_23onesweep_lookback_stateET6_jjj
                                        ; -- End function
	.section	.AMDGPU.csdata,"",@progbits
; Kernel info:
; codeLenInByte = 18796
; NumSgprs: 78
; NumVgprs: 76
; NumAgprs: 0
; TotalNumVgprs: 76
; ScratchSize: 0
; MemoryBound: 0
; FloatMode: 240
; IeeeMode: 1
; LDSByteSize: 26624 bytes/workgroup (compile time only)
; SGPRBlocks: 9
; VGPRBlocks: 9
; NumSGPRsForWavesPerEU: 78
; NumVGPRsForWavesPerEU: 76
; AccumOffset: 76
; Occupancy: 2
; WaveLimiterHint : 1
; COMPUTE_PGM_RSRC2:SCRATCH_EN: 0
; COMPUTE_PGM_RSRC2:USER_SGPR: 6
; COMPUTE_PGM_RSRC2:TRAP_HANDLER: 0
; COMPUTE_PGM_RSRC2:TGID_X_EN: 1
; COMPUTE_PGM_RSRC2:TGID_Y_EN: 0
; COMPUTE_PGM_RSRC2:TGID_Z_EN: 0
; COMPUTE_PGM_RSRC2:TIDIG_COMP_CNT: 2
; COMPUTE_PGM_RSRC3_GFX90A:ACCUM_OFFSET: 18
; COMPUTE_PGM_RSRC3_GFX90A:TG_SPLIT: 0
	.section	.text._ZN7rocprim17ROCPRIM_304000_NS6detail28radix_sort_block_sort_kernelINS1_36wrapped_radix_sort_block_sort_configINS0_13kernel_configILj256ELj4ELj4294967295EEElN2at4cuda3cub6detail10OpaqueTypeILi1EEEEELb0EPKlPlPKSB_PSB_NS0_19identity_decomposerEEEvT1_T2_T3_T4_jT5_jj,"axG",@progbits,_ZN7rocprim17ROCPRIM_304000_NS6detail28radix_sort_block_sort_kernelINS1_36wrapped_radix_sort_block_sort_configINS0_13kernel_configILj256ELj4ELj4294967295EEElN2at4cuda3cub6detail10OpaqueTypeILi1EEEEELb0EPKlPlPKSB_PSB_NS0_19identity_decomposerEEEvT1_T2_T3_T4_jT5_jj,comdat
	.protected	_ZN7rocprim17ROCPRIM_304000_NS6detail28radix_sort_block_sort_kernelINS1_36wrapped_radix_sort_block_sort_configINS0_13kernel_configILj256ELj4ELj4294967295EEElN2at4cuda3cub6detail10OpaqueTypeILi1EEEEELb0EPKlPlPKSB_PSB_NS0_19identity_decomposerEEEvT1_T2_T3_T4_jT5_jj ; -- Begin function _ZN7rocprim17ROCPRIM_304000_NS6detail28radix_sort_block_sort_kernelINS1_36wrapped_radix_sort_block_sort_configINS0_13kernel_configILj256ELj4ELj4294967295EEElN2at4cuda3cub6detail10OpaqueTypeILi1EEEEELb0EPKlPlPKSB_PSB_NS0_19identity_decomposerEEEvT1_T2_T3_T4_jT5_jj
	.globl	_ZN7rocprim17ROCPRIM_304000_NS6detail28radix_sort_block_sort_kernelINS1_36wrapped_radix_sort_block_sort_configINS0_13kernel_configILj256ELj4ELj4294967295EEElN2at4cuda3cub6detail10OpaqueTypeILi1EEEEELb0EPKlPlPKSB_PSB_NS0_19identity_decomposerEEEvT1_T2_T3_T4_jT5_jj
	.p2align	8
	.type	_ZN7rocprim17ROCPRIM_304000_NS6detail28radix_sort_block_sort_kernelINS1_36wrapped_radix_sort_block_sort_configINS0_13kernel_configILj256ELj4ELj4294967295EEElN2at4cuda3cub6detail10OpaqueTypeILi1EEEEELb0EPKlPlPKSB_PSB_NS0_19identity_decomposerEEEvT1_T2_T3_T4_jT5_jj,@function
_ZN7rocprim17ROCPRIM_304000_NS6detail28radix_sort_block_sort_kernelINS1_36wrapped_radix_sort_block_sort_configINS0_13kernel_configILj256ELj4ELj4294967295EEElN2at4cuda3cub6detail10OpaqueTypeILi1EEEEELb0EPKlPlPKSB_PSB_NS0_19identity_decomposerEEEvT1_T2_T3_T4_jT5_jj: ; @_ZN7rocprim17ROCPRIM_304000_NS6detail28radix_sort_block_sort_kernelINS1_36wrapped_radix_sort_block_sort_configINS0_13kernel_configILj256ELj4ELj4294967295EEElN2at4cuda3cub6detail10OpaqueTypeILi1EEEEELb0EPKlPlPKSB_PSB_NS0_19identity_decomposerEEEvT1_T2_T3_T4_jT5_jj
; %bb.0:
	s_load_dword s2, s[4:5], 0x20
	s_load_dwordx8 s[36:43], s[4:5], 0x0
	s_lshl_b32 s28, s6, 10
	s_mov_b32 s29, 0
	v_mbcnt_lo_u32_b32 v1, -1, 0
	s_waitcnt lgkmcnt(0)
	s_lshr_b32 s0, s2, 10
	s_cmp_lg_u32 s6, s0
	s_cselect_b64 s[30:31], -1, 0
	s_lshl_b64 s[34:35], s[28:29], 3
	v_and_b32_e32 v10, 0x3ff, v0
	s_add_u32 s1, s36, s34
	v_mbcnt_hi_u32_b32 v1, -1, v1
	s_addc_u32 s3, s37, s35
	v_lshlrev_b32_e32 v14, 2, v10
	v_lshlrev_b32_e32 v2, 3, v1
	v_and_b32_e32 v16, 0x300, v14
	v_mov_b32_e32 v3, s3
	v_add_co_u32_e32 v2, vcc, s1, v2
	v_addc_co_u32_e32 v3, vcc, 0, v3, vcc
	v_lshlrev_b32_e32 v4, 3, v16
	v_add_co_u32_e32 v12, vcc, v2, v4
	s_cmp_eq_u32 s6, s0
	v_addc_co_u32_e32 v13, vcc, 0, v3, vcc
	v_add_u32_e32 v15, v1, v16
	s_cbranch_scc1 .LBB16_2
; %bb.1:
	s_add_u32 s0, s40, s28
	s_addc_u32 s1, s41, 0
	v_mov_b32_e32 v11, s1
	v_add_co_u32_e32 v17, vcc, s0, v1
	v_addc_co_u32_e32 v11, vcc, 0, v11, vcc
	v_add_co_u32_e32 v18, vcc, v17, v16
	v_addc_co_u32_e32 v19, vcc, 0, v11, vcc
	global_load_dwordx2 v[2:3], v[12:13], off
	global_load_dwordx2 v[4:5], v[12:13], off offset:512
	global_load_dwordx2 v[6:7], v[12:13], off offset:1024
	;; [unrolled: 1-line block ×3, first 2 shown]
	global_load_ubyte v17, v[18:19], off
	global_load_ubyte v43, v[18:19], off offset:64
	global_load_ubyte v44, v[18:19], off offset:128
	global_load_ubyte v45, v[18:19], off offset:192
	v_add_u32_e32 v28, v1, v16
	v_add_u32_e32 v11, 64, v28
	;; [unrolled: 1-line block ×4, first 2 shown]
	s_sub_i32 s29, s2, s28
	s_cbranch_execz .LBB16_3
	s_branch .LBB16_17
.LBB16_2:
                                        ; implicit-def: $vgpr2_vgpr3_vgpr4_vgpr5_vgpr6_vgpr7_vgpr8_vgpr9
                                        ; implicit-def: $vgpr17
                                        ; implicit-def: $vgpr43
                                        ; implicit-def: $vgpr44
                                        ; implicit-def: $vgpr45
                                        ; implicit-def: $vgpr28
                                        ; implicit-def: $vgpr11
                                        ; implicit-def: $vgpr26
                                        ; implicit-def: $vgpr27
	s_sub_i32 s29, s2, s28
.LBB16_3:
	s_brev_b32 s9, -2
	s_mov_b32 s8, -1
	s_mov_b32 s10, s8
	s_mov_b32 s11, s9
	;; [unrolled: 1-line block ×6, first 2 shown]
	s_waitcnt vmcnt(4)
	v_pk_mov_b32 v[2:3], s[8:9], s[8:9] op_sel:[0,1]
	v_cmp_gt_u32_e32 vcc, s29, v15
	v_pk_mov_b32 v[4:5], s[10:11], s[10:11] op_sel:[0,1]
	v_pk_mov_b32 v[6:7], s[12:13], s[12:13] op_sel:[0,1]
	;; [unrolled: 1-line block ×3, first 2 shown]
	s_and_saveexec_b64 s[0:1], vcc
	s_cbranch_execz .LBB16_5
; %bb.4:
	global_load_dwordx2 v[2:3], v[12:13], off
	v_mov_b32_e32 v4, -1
	v_bfrev_b32_e32 v5, -2
	v_mov_b32_e32 v6, v4
	v_mov_b32_e32 v7, v5
	;; [unrolled: 1-line block ×4, first 2 shown]
.LBB16_5:
	s_or_b64 exec, exec, s[0:1]
	v_add_u32_e32 v11, 64, v15
	v_cmp_gt_u32_e64 s[0:1], s29, v11
	s_and_saveexec_b64 s[2:3], s[0:1]
	s_cbranch_execz .LBB16_7
; %bb.6:
	global_load_dwordx2 v[4:5], v[12:13], off offset:512
.LBB16_7:
	s_or_b64 exec, exec, s[2:3]
	v_add_u32_e32 v26, 0x80, v15
	v_cmp_gt_u32_e64 s[2:3], s29, v26
	s_and_saveexec_b64 s[6:7], s[2:3]
	s_cbranch_execz .LBB16_9
; %bb.8:
	global_load_dwordx2 v[6:7], v[12:13], off offset:1024
.LBB16_9:
	s_or_b64 exec, exec, s[6:7]
	v_add_u32_e32 v27, 0xc0, v15
	v_cmp_gt_u32_e64 s[6:7], s29, v27
	s_and_saveexec_b64 s[8:9], s[6:7]
	s_cbranch_execz .LBB16_11
; %bb.10:
	global_load_dwordx2 v[8:9], v[12:13], off offset:1536
.LBB16_11:
	s_or_b64 exec, exec, s[8:9]
	s_add_u32 s8, s40, s28
	s_addc_u32 s9, s41, 0
	v_mov_b32_e32 v12, s9
	v_add_co_u32_e64 v13, s[8:9], s8, v1
	s_waitcnt vmcnt(3)
	v_addc_co_u32_e64 v17, s[8:9], 0, v12, s[8:9]
	v_add_co_u32_e64 v12, s[8:9], v13, v16
	v_addc_co_u32_e64 v13, s[8:9], 0, v17, s[8:9]
                                        ; implicit-def: $vgpr17
	s_and_saveexec_b64 s[8:9], vcc
	s_cbranch_execnz .LBB16_54
; %bb.12:
	s_or_b64 exec, exec, s[8:9]
                                        ; implicit-def: $vgpr43
	s_and_saveexec_b64 s[8:9], s[0:1]
	s_cbranch_execnz .LBB16_55
.LBB16_13:
	s_or_b64 exec, exec, s[8:9]
                                        ; implicit-def: $vgpr44
	s_and_saveexec_b64 s[0:1], s[2:3]
	s_cbranch_execnz .LBB16_56
.LBB16_14:
	s_or_b64 exec, exec, s[0:1]
                                        ; implicit-def: $vgpr45
	s_and_saveexec_b64 s[0:1], s[6:7]
	s_cbranch_execz .LBB16_16
.LBB16_15:
	global_load_ubyte v45, v[12:13], off offset:192
.LBB16_16:
	s_or_b64 exec, exec, s[0:1]
	v_mov_b32_e32 v28, v15
.LBB16_17:
	s_load_dwordx2 s[36:37], s[4:5], 0x28
	s_load_dword s0, s[4:5], 0x3c
	v_bfe_u32 v12, v0, 10, 10
	v_bfe_u32 v0, v0, 20, 10
	s_mov_b32 s26, 0
	v_lshlrev_b32_e32 v29, 2, v14
	s_waitcnt lgkmcnt(0)
	s_lshr_b32 s1, s0, 16
	s_and_b32 s0, s0, 0xffff
	v_mad_u32_u24 v0, v0, s1, v12
	v_mad_u64_u32 v[12:13], s[0:1], v0, s0, v[10:11]
	v_and_b32_e32 v0, 15, v1
	v_cmp_eq_u32_e64 s[0:1], 0, v0
	v_cmp_lt_u32_e64 s[2:3], 1, v0
	v_cmp_lt_u32_e64 s[4:5], 3, v0
	;; [unrolled: 1-line block ×3, first 2 shown]
	v_and_b32_e32 v0, 16, v1
	v_cmp_eq_u32_e64 s[8:9], 0, v0
	v_and_b32_e32 v0, 0x3c0, v10
	v_min_u32_e32 v0, 0xc0, v0
	v_or_b32_e32 v0, 63, v0
	v_lshrrev_b32_e32 v30, 6, v12
	v_cmp_eq_u32_e64 s[12:13], v0, v10
	v_add_u32_e32 v0, -1, v1
	v_and_b32_e32 v12, 64, v1
	v_cmp_lt_i32_e32 vcc, v0, v12
	v_cndmask_b32_e32 v0, v0, v1, vcc
	v_lshlrev_b32_e32 v31, 2, v0
	v_lshrrev_b32_e32 v0, 4, v10
	v_cmp_lt_u32_e64 s[10:11], 31, v1
	v_cmp_eq_u32_e64 s[18:19], 0, v1
	v_and_b32_e32 v32, 60, v0
	v_mul_i32_i24_e32 v0, -12, v10
	v_and_b32_e32 v1, 3, v1
	s_mov_b32 s27, s26
	s_mov_b32 s40, s26
	;; [unrolled: 1-line block ×3, first 2 shown]
	s_waitcnt vmcnt(0)
	v_xor_b32_e32 v3, 0x80000000, v3
	v_xor_b32_e32 v5, 0x80000000, v5
	;; [unrolled: 1-line block ×3, first 2 shown]
	s_add_i32 s33, s37, s36
	v_xor_b32_e32 v9, 0x80000000, v9
	v_cmp_gt_u32_e64 s[14:15], 4, v10
	v_cmp_lt_u32_e64 s[16:17], 63, v10
	v_cmp_eq_u32_e64 s[20:21], 0, v10
	v_cmp_eq_u32_e64 s[22:23], 0, v1
	v_cmp_lt_u32_e64 s[24:25], 1, v1
	v_add_u32_e32 v33, -4, v32
	v_lshlrev_b32_e32 v34, 3, v28
	v_lshlrev_b32_e32 v35, 3, v11
	;; [unrolled: 1-line block ×4, first 2 shown]
	v_pk_mov_b32 v[12:13], s[26:27], s[26:27] op_sel:[0,1]
	v_pk_mov_b32 v[14:15], s[40:41], s[40:41] op_sel:[0,1]
	v_add_u32_e32 v42, v29, v0
	v_mov_b32_e32 v16, 0
	s_branch .LBB16_19
.LBB16_18:                              ;   in Loop: Header=BB16_19 Depth=1
	s_barrier
	ds_write_b64 v0, v[24:25]
	ds_write_b64 v1, v[22:23]
	;; [unrolled: 1-line block ×4, first 2 shown]
	s_waitcnt lgkmcnt(0)
	s_barrier
	ds_read_b64 v[2:3], v34
	ds_read_b64 v[4:5], v35
	;; [unrolled: 1-line block ×4, first 2 shown]
	s_waitcnt lgkmcnt(0)
	s_barrier
	ds_write_b8 v46, v41
	ds_write_b8 v47, v40
	;; [unrolled: 1-line block ×4, first 2 shown]
	s_waitcnt lgkmcnt(0)
	s_barrier
	ds_read_u8 v17, v28
	ds_read_u8 v43, v11
	;; [unrolled: 1-line block ×4, first 2 shown]
	s_add_i32 s37, s37, -8
	s_waitcnt lgkmcnt(0)
	s_barrier
	s_cbranch_execz .LBB16_35
.LBB16_19:                              ; =>This Inner Loop Header: Depth=1
	s_min_u32 s26, s37, 8
	v_pk_mov_b32 v[24:25], v[2:3], v[2:3] op_sel:[0,1]
	s_lshl_b32 s26, -1, s26
	s_not_b32 s40, s26
	v_lshrrev_b64 v[0:1], s36, v[24:25]
	v_and_b32_e32 v0, s40, v0
	v_lshl_add_u32 v1, v0, 2, v30
	v_pk_mov_b32 v[22:23], v[4:5], v[4:5] op_sel:[0,1]
	v_lshl_add_u32 v4, v1, 2, 16
	v_and_b32_e32 v1, 1, v0
	v_add_co_u32_e32 v2, vcc, -1, v1
	v_mov_b32_e32 v41, v17
	v_addc_co_u32_e64 v3, s[26:27], 0, -1, vcc
	v_cmp_ne_u32_e32 vcc, 0, v1
	v_lshlrev_b32_e32 v17, 30, v0
	v_xor_b32_e32 v1, vcc_hi, v3
	v_not_b32_e32 v3, v17
	v_xor_b32_e32 v2, vcc_lo, v2
	v_cmp_gt_i64_e32 vcc, 0, v[16:17]
	v_ashrrev_i32_e32 v3, 31, v3
	v_and_b32_e32 v2, exec_lo, v2
	v_xor_b32_e32 v5, vcc_hi, v3
	v_xor_b32_e32 v3, vcc_lo, v3
	v_lshlrev_b32_e32 v17, 29, v0
	v_and_b32_e32 v2, v2, v3
	v_not_b32_e32 v3, v17
	v_and_b32_e32 v1, exec_hi, v1
	v_cmp_gt_i64_e32 vcc, 0, v[16:17]
	v_ashrrev_i32_e32 v3, 31, v3
	v_and_b32_e32 v1, v1, v5
	v_xor_b32_e32 v5, vcc_hi, v3
	v_xor_b32_e32 v3, vcc_lo, v3
	v_lshlrev_b32_e32 v17, 28, v0
	v_and_b32_e32 v2, v2, v3
	v_not_b32_e32 v3, v17
	v_cmp_gt_i64_e32 vcc, 0, v[16:17]
	v_ashrrev_i32_e32 v3, 31, v3
	v_and_b32_e32 v1, v1, v5
	v_xor_b32_e32 v5, vcc_hi, v3
	v_xor_b32_e32 v3, vcc_lo, v3
	v_lshlrev_b32_e32 v17, 27, v0
	v_and_b32_e32 v2, v2, v3
	v_not_b32_e32 v3, v17
	;; [unrolled: 8-line block ×3, first 2 shown]
	v_cmp_gt_i64_e32 vcc, 0, v[16:17]
	v_ashrrev_i32_e32 v3, 31, v3
	v_and_b32_e32 v1, v1, v5
	v_xor_b32_e32 v5, vcc_hi, v3
	v_xor_b32_e32 v3, vcc_lo, v3
	v_lshlrev_b32_e32 v17, 25, v0
	v_and_b32_e32 v2, v2, v3
	v_cmp_gt_i64_e32 vcc, 0, v[16:17]
	v_not_b32_e32 v3, v17
	v_lshlrev_b32_e32 v17, 24, v0
	v_ashrrev_i32_e32 v3, 31, v3
	v_not_b32_e32 v0, v17
	v_and_b32_e32 v1, v1, v5
	v_xor_b32_e32 v5, vcc_hi, v3
	v_xor_b32_e32 v3, vcc_lo, v3
	v_cmp_gt_i64_e32 vcc, 0, v[16:17]
	v_ashrrev_i32_e32 v0, 31, v0
	v_and_b32_e32 v2, v2, v3
	v_xor_b32_e32 v3, vcc_hi, v0
	v_xor_b32_e32 v0, vcc_lo, v0
	v_and_b32_e32 v1, v1, v5
	v_and_b32_e32 v0, v2, v0
	;; [unrolled: 1-line block ×3, first 2 shown]
	v_mbcnt_lo_u32_b32 v2, v0, 0
	v_mbcnt_hi_u32_b32 v5, v1, v2
	v_cmp_eq_u32_e32 vcc, 0, v5
	v_cmp_ne_u64_e64 s[26:27], 0, v[0:1]
	v_pk_mov_b32 v[18:19], v[8:9], v[8:9] op_sel:[0,1]
	v_pk_mov_b32 v[20:21], v[6:7], v[6:7] op_sel:[0,1]
	v_mov_b32_e32 v40, v43
	v_mov_b32_e32 v39, v44
	;; [unrolled: 1-line block ×3, first 2 shown]
	s_and_b64 s[44:45], s[26:27], vcc
	ds_write2_b64 v29, v[12:13], v[14:15] offset0:2 offset1:3
	s_waitcnt lgkmcnt(0)
	s_barrier
	s_waitcnt lgkmcnt(0)
	; wave barrier
	s_and_saveexec_b64 s[26:27], s[44:45]
	s_cbranch_execz .LBB16_21
; %bb.20:                               ;   in Loop: Header=BB16_19 Depth=1
	v_bcnt_u32_b32 v0, v0, 0
	v_bcnt_u32_b32 v0, v1, v0
	ds_write_b32 v4, v0
.LBB16_21:                              ;   in Loop: Header=BB16_19 Depth=1
	s_or_b64 exec, exec, s[26:27]
	v_lshrrev_b64 v[0:1], s36, v[22:23]
	v_and_b32_e32 v0, s40, v0
	v_lshlrev_b32_e32 v1, 2, v0
	v_add_lshl_u32 v1, v1, v30, 2
	; wave barrier
	v_add_u32_e32 v7, 16, v1
	ds_read_b32 v6, v1 offset:16
	v_and_b32_e32 v1, 1, v0
	v_add_co_u32_e32 v2, vcc, -1, v1
	v_addc_co_u32_e64 v3, s[26:27], 0, -1, vcc
	v_cmp_ne_u32_e32 vcc, 0, v1
	v_lshlrev_b32_e32 v17, 30, v0
	v_xor_b32_e32 v1, vcc_hi, v3
	v_not_b32_e32 v3, v17
	v_xor_b32_e32 v2, vcc_lo, v2
	v_cmp_gt_i64_e32 vcc, 0, v[16:17]
	v_ashrrev_i32_e32 v3, 31, v3
	v_and_b32_e32 v2, exec_lo, v2
	v_xor_b32_e32 v8, vcc_hi, v3
	v_xor_b32_e32 v3, vcc_lo, v3
	v_lshlrev_b32_e32 v17, 29, v0
	v_and_b32_e32 v2, v2, v3
	v_not_b32_e32 v3, v17
	v_and_b32_e32 v1, exec_hi, v1
	v_cmp_gt_i64_e32 vcc, 0, v[16:17]
	v_ashrrev_i32_e32 v3, 31, v3
	v_and_b32_e32 v1, v1, v8
	v_xor_b32_e32 v8, vcc_hi, v3
	v_xor_b32_e32 v3, vcc_lo, v3
	v_lshlrev_b32_e32 v17, 28, v0
	v_and_b32_e32 v2, v2, v3
	v_not_b32_e32 v3, v17
	v_cmp_gt_i64_e32 vcc, 0, v[16:17]
	v_ashrrev_i32_e32 v3, 31, v3
	v_and_b32_e32 v1, v1, v8
	v_xor_b32_e32 v8, vcc_hi, v3
	v_xor_b32_e32 v3, vcc_lo, v3
	v_lshlrev_b32_e32 v17, 27, v0
	v_and_b32_e32 v2, v2, v3
	v_not_b32_e32 v3, v17
	;; [unrolled: 8-line block ×3, first 2 shown]
	v_cmp_gt_i64_e32 vcc, 0, v[16:17]
	v_ashrrev_i32_e32 v3, 31, v3
	v_and_b32_e32 v1, v1, v8
	v_xor_b32_e32 v8, vcc_hi, v3
	v_xor_b32_e32 v3, vcc_lo, v3
	v_lshlrev_b32_e32 v17, 25, v0
	v_and_b32_e32 v2, v2, v3
	v_cmp_gt_i64_e32 vcc, 0, v[16:17]
	v_not_b32_e32 v3, v17
	v_lshlrev_b32_e32 v17, 24, v0
	v_ashrrev_i32_e32 v3, 31, v3
	v_not_b32_e32 v0, v17
	v_and_b32_e32 v1, v1, v8
	v_xor_b32_e32 v8, vcc_hi, v3
	v_xor_b32_e32 v3, vcc_lo, v3
	v_cmp_gt_i64_e32 vcc, 0, v[16:17]
	v_ashrrev_i32_e32 v0, 31, v0
	v_and_b32_e32 v2, v2, v3
	v_xor_b32_e32 v3, vcc_hi, v0
	v_xor_b32_e32 v0, vcc_lo, v0
	v_and_b32_e32 v1, v1, v8
	v_and_b32_e32 v0, v2, v0
	;; [unrolled: 1-line block ×3, first 2 shown]
	v_mbcnt_lo_u32_b32 v2, v0, 0
	v_mbcnt_hi_u32_b32 v8, v1, v2
	v_cmp_eq_u32_e32 vcc, 0, v8
	v_cmp_ne_u64_e64 s[26:27], 0, v[0:1]
	s_and_b64 s[44:45], s[26:27], vcc
	; wave barrier
	s_and_saveexec_b64 s[26:27], s[44:45]
	s_cbranch_execz .LBB16_23
; %bb.22:                               ;   in Loop: Header=BB16_19 Depth=1
	v_bcnt_u32_b32 v0, v0, 0
	v_bcnt_u32_b32 v0, v1, v0
	s_waitcnt lgkmcnt(0)
	v_add_u32_e32 v0, v6, v0
	ds_write_b32 v7, v0
.LBB16_23:                              ;   in Loop: Header=BB16_19 Depth=1
	s_or_b64 exec, exec, s[26:27]
	v_lshrrev_b64 v[0:1], s36, v[20:21]
	v_and_b32_e32 v0, s40, v0
	v_lshlrev_b32_e32 v1, 2, v0
	v_add_lshl_u32 v1, v1, v30, 2
	; wave barrier
	v_add_u32_e32 v43, 16, v1
	ds_read_b32 v9, v1 offset:16
	v_and_b32_e32 v1, 1, v0
	v_add_co_u32_e32 v2, vcc, -1, v1
	v_addc_co_u32_e64 v3, s[26:27], 0, -1, vcc
	v_cmp_ne_u32_e32 vcc, 0, v1
	v_lshlrev_b32_e32 v17, 30, v0
	v_xor_b32_e32 v1, vcc_hi, v3
	v_not_b32_e32 v3, v17
	v_xor_b32_e32 v2, vcc_lo, v2
	v_cmp_gt_i64_e32 vcc, 0, v[16:17]
	v_ashrrev_i32_e32 v3, 31, v3
	v_and_b32_e32 v1, exec_hi, v1
	v_xor_b32_e32 v17, vcc_hi, v3
	v_and_b32_e32 v2, exec_lo, v2
	v_xor_b32_e32 v3, vcc_lo, v3
	v_and_b32_e32 v1, v1, v17
	v_lshlrev_b32_e32 v17, 29, v0
	v_and_b32_e32 v2, v2, v3
	v_not_b32_e32 v3, v17
	v_cmp_gt_i64_e32 vcc, 0, v[16:17]
	v_ashrrev_i32_e32 v3, 31, v3
	v_xor_b32_e32 v17, vcc_hi, v3
	v_xor_b32_e32 v3, vcc_lo, v3
	v_and_b32_e32 v1, v1, v17
	v_lshlrev_b32_e32 v17, 28, v0
	v_and_b32_e32 v2, v2, v3
	v_not_b32_e32 v3, v17
	v_cmp_gt_i64_e32 vcc, 0, v[16:17]
	v_ashrrev_i32_e32 v3, 31, v3
	v_xor_b32_e32 v17, vcc_hi, v3
	v_xor_b32_e32 v3, vcc_lo, v3
	v_and_b32_e32 v1, v1, v17
	v_lshlrev_b32_e32 v17, 27, v0
	v_and_b32_e32 v2, v2, v3
	v_not_b32_e32 v3, v17
	v_cmp_gt_i64_e32 vcc, 0, v[16:17]
	v_ashrrev_i32_e32 v3, 31, v3
	v_xor_b32_e32 v17, vcc_hi, v3
	v_xor_b32_e32 v3, vcc_lo, v3
	v_and_b32_e32 v1, v1, v17
	v_lshlrev_b32_e32 v17, 26, v0
	v_and_b32_e32 v2, v2, v3
	v_not_b32_e32 v3, v17
	v_cmp_gt_i64_e32 vcc, 0, v[16:17]
	v_ashrrev_i32_e32 v3, 31, v3
	v_xor_b32_e32 v17, vcc_hi, v3
	v_xor_b32_e32 v3, vcc_lo, v3
	v_and_b32_e32 v1, v1, v17
	v_lshlrev_b32_e32 v17, 25, v0
	v_and_b32_e32 v2, v2, v3
	v_not_b32_e32 v3, v17
	v_cmp_gt_i64_e32 vcc, 0, v[16:17]
	v_ashrrev_i32_e32 v3, 31, v3
	v_xor_b32_e32 v17, vcc_hi, v3
	v_and_b32_e32 v1, v1, v17
	v_lshlrev_b32_e32 v17, 24, v0
	v_not_b32_e32 v0, v17
	v_xor_b32_e32 v3, vcc_lo, v3
	v_cmp_gt_i64_e32 vcc, 0, v[16:17]
	v_ashrrev_i32_e32 v0, 31, v0
	v_and_b32_e32 v2, v2, v3
	v_xor_b32_e32 v3, vcc_hi, v0
	v_xor_b32_e32 v0, vcc_lo, v0
	v_and_b32_e32 v0, v2, v0
	v_and_b32_e32 v1, v1, v3
	v_mbcnt_lo_u32_b32 v2, v0, 0
	v_mbcnt_hi_u32_b32 v44, v1, v2
	v_cmp_eq_u32_e32 vcc, 0, v44
	v_cmp_ne_u64_e64 s[26:27], 0, v[0:1]
	s_and_b64 s[44:45], s[26:27], vcc
	; wave barrier
	s_and_saveexec_b64 s[26:27], s[44:45]
	s_cbranch_execz .LBB16_25
; %bb.24:                               ;   in Loop: Header=BB16_19 Depth=1
	v_bcnt_u32_b32 v0, v0, 0
	v_bcnt_u32_b32 v0, v1, v0
	s_waitcnt lgkmcnt(0)
	v_add_u32_e32 v0, v9, v0
	ds_write_b32 v43, v0
.LBB16_25:                              ;   in Loop: Header=BB16_19 Depth=1
	s_or_b64 exec, exec, s[26:27]
	v_lshrrev_b64 v[0:1], s36, v[18:19]
	v_and_b32_e32 v0, s40, v0
	v_lshlrev_b32_e32 v1, 2, v0
	v_add_lshl_u32 v1, v1, v30, 2
	; wave barrier
	v_add_u32_e32 v46, 16, v1
	ds_read_b32 v45, v1 offset:16
	v_and_b32_e32 v1, 1, v0
	v_add_co_u32_e32 v2, vcc, -1, v1
	v_addc_co_u32_e64 v3, s[26:27], 0, -1, vcc
	v_cmp_ne_u32_e32 vcc, 0, v1
	v_lshlrev_b32_e32 v17, 30, v0
	v_xor_b32_e32 v1, vcc_hi, v3
	v_not_b32_e32 v3, v17
	v_xor_b32_e32 v2, vcc_lo, v2
	v_cmp_gt_i64_e32 vcc, 0, v[16:17]
	v_ashrrev_i32_e32 v3, 31, v3
	v_and_b32_e32 v1, exec_hi, v1
	v_xor_b32_e32 v17, vcc_hi, v3
	v_and_b32_e32 v2, exec_lo, v2
	v_xor_b32_e32 v3, vcc_lo, v3
	v_and_b32_e32 v1, v1, v17
	v_lshlrev_b32_e32 v17, 29, v0
	v_and_b32_e32 v2, v2, v3
	v_not_b32_e32 v3, v17
	v_cmp_gt_i64_e32 vcc, 0, v[16:17]
	v_ashrrev_i32_e32 v3, 31, v3
	v_xor_b32_e32 v17, vcc_hi, v3
	v_xor_b32_e32 v3, vcc_lo, v3
	v_and_b32_e32 v1, v1, v17
	v_lshlrev_b32_e32 v17, 28, v0
	v_and_b32_e32 v2, v2, v3
	v_not_b32_e32 v3, v17
	v_cmp_gt_i64_e32 vcc, 0, v[16:17]
	v_ashrrev_i32_e32 v3, 31, v3
	v_xor_b32_e32 v17, vcc_hi, v3
	;; [unrolled: 8-line block ×5, first 2 shown]
	v_and_b32_e32 v1, v1, v17
	v_lshlrev_b32_e32 v17, 24, v0
	v_not_b32_e32 v0, v17
	v_xor_b32_e32 v3, vcc_lo, v3
	v_cmp_gt_i64_e32 vcc, 0, v[16:17]
	v_ashrrev_i32_e32 v0, 31, v0
	v_and_b32_e32 v2, v2, v3
	v_xor_b32_e32 v3, vcc_hi, v0
	v_xor_b32_e32 v0, vcc_lo, v0
	v_and_b32_e32 v0, v2, v0
	v_and_b32_e32 v1, v1, v3
	v_mbcnt_lo_u32_b32 v2, v0, 0
	v_mbcnt_hi_u32_b32 v17, v1, v2
	v_cmp_eq_u32_e32 vcc, 0, v17
	v_cmp_ne_u64_e64 s[26:27], 0, v[0:1]
	s_and_b64 s[40:41], s[26:27], vcc
	; wave barrier
	s_and_saveexec_b64 s[26:27], s[40:41]
	s_cbranch_execz .LBB16_27
; %bb.26:                               ;   in Loop: Header=BB16_19 Depth=1
	v_bcnt_u32_b32 v0, v0, 0
	v_bcnt_u32_b32 v0, v1, v0
	s_waitcnt lgkmcnt(0)
	v_add_u32_e32 v0, v45, v0
	ds_write_b32 v46, v0
.LBB16_27:                              ;   in Loop: Header=BB16_19 Depth=1
	s_or_b64 exec, exec, s[26:27]
	; wave barrier
	s_waitcnt lgkmcnt(0)
	s_barrier
	ds_read2_b64 v[0:3], v29 offset0:2 offset1:3
	s_waitcnt lgkmcnt(0)
	v_add_u32_e32 v47, v1, v0
	v_add3_u32 v3, v47, v2, v3
	s_nop 1
	v_mov_b32_dpp v47, v3 row_shr:1 row_mask:0xf bank_mask:0xf
	v_cndmask_b32_e64 v47, v47, 0, s[0:1]
	v_add_u32_e32 v3, v47, v3
	s_nop 1
	v_mov_b32_dpp v47, v3 row_shr:2 row_mask:0xf bank_mask:0xf
	v_cndmask_b32_e64 v47, 0, v47, s[2:3]
	v_add_u32_e32 v3, v3, v47
	;; [unrolled: 4-line block ×4, first 2 shown]
	s_nop 1
	v_mov_b32_dpp v47, v3 row_bcast:15 row_mask:0xf bank_mask:0xf
	v_cndmask_b32_e64 v47, v47, 0, s[8:9]
	v_add_u32_e32 v3, v3, v47
	s_nop 1
	v_mov_b32_dpp v47, v3 row_bcast:31 row_mask:0xf bank_mask:0xf
	v_cndmask_b32_e64 v47, 0, v47, s[10:11]
	v_add_u32_e32 v3, v3, v47
	s_and_saveexec_b64 s[26:27], s[12:13]
	s_cbranch_execz .LBB16_29
; %bb.28:                               ;   in Loop: Header=BB16_19 Depth=1
	ds_write_b32 v32, v3
.LBB16_29:                              ;   in Loop: Header=BB16_19 Depth=1
	s_or_b64 exec, exec, s[26:27]
	s_waitcnt lgkmcnt(0)
	s_barrier
	s_and_saveexec_b64 s[26:27], s[14:15]
	s_cbranch_execz .LBB16_31
; %bb.30:                               ;   in Loop: Header=BB16_19 Depth=1
	ds_read_b32 v47, v42
	s_waitcnt lgkmcnt(0)
	s_nop 0
	v_mov_b32_dpp v48, v47 row_shr:1 row_mask:0xf bank_mask:0xf
	v_cndmask_b32_e64 v48, v48, 0, s[22:23]
	v_add_u32_e32 v47, v48, v47
	s_nop 1
	v_mov_b32_dpp v48, v47 row_shr:2 row_mask:0xf bank_mask:0xf
	v_cndmask_b32_e64 v48, 0, v48, s[24:25]
	v_add_u32_e32 v47, v47, v48
	ds_write_b32 v42, v47
.LBB16_31:                              ;   in Loop: Header=BB16_19 Depth=1
	s_or_b64 exec, exec, s[26:27]
	v_mov_b32_e32 v47, 0
	s_waitcnt lgkmcnt(0)
	s_barrier
	s_and_saveexec_b64 s[26:27], s[16:17]
	s_cbranch_execz .LBB16_33
; %bb.32:                               ;   in Loop: Header=BB16_19 Depth=1
	ds_read_b32 v47, v33
.LBB16_33:                              ;   in Loop: Header=BB16_19 Depth=1
	s_or_b64 exec, exec, s[26:27]
	s_waitcnt lgkmcnt(0)
	v_add_u32_e32 v3, v47, v3
	ds_bpermute_b32 v3, v31, v3
	s_add_i32 s36, s36, 8
	s_cmp_ge_u32 s36, s33
	s_waitcnt lgkmcnt(0)
	v_cndmask_b32_e64 v3, v3, v47, s[18:19]
	v_cndmask_b32_e64 v48, v3, 0, s[20:21]
	v_add_u32_e32 v49, v48, v0
	v_add_u32_e32 v0, v49, v1
	;; [unrolled: 1-line block ×3, first 2 shown]
	ds_write2_b64 v29, v[48:49], v[0:1] offset0:2 offset1:3
	s_waitcnt lgkmcnt(0)
	s_barrier
	ds_read_b32 v0, v4
	ds_read_b32 v1, v7
	;; [unrolled: 1-line block ×4, first 2 shown]
	s_waitcnt lgkmcnt(0)
	v_add_u32_e32 v46, v0, v5
	v_add3_u32 v47, v8, v6, v1
	v_add3_u32 v48, v44, v9, v2
	;; [unrolled: 1-line block ×3, first 2 shown]
	v_lshlrev_b32_e32 v0, 3, v46
	v_lshlrev_b32_e32 v1, 3, v47
	;; [unrolled: 1-line block ×4, first 2 shown]
	s_cbranch_scc0 .LBB16_18
; %bb.34:
                                        ; implicit-def: $vgpr8_vgpr9
                                        ; implicit-def: $sgpr36
                                        ; implicit-def: $vgpr17
                                        ; implicit-def: $vgpr43
                                        ; implicit-def: $vgpr44
                                        ; implicit-def: $vgpr45
.LBB16_35:
	v_lshlrev_b32_e32 v8, 3, v10
	s_barrier
	ds_write_b64 v0, v[24:25]
	ds_write_b64 v1, v[22:23]
	;; [unrolled: 1-line block ×4, first 2 shown]
	s_waitcnt lgkmcnt(0)
	s_barrier
	ds_read2st64_b64 v[4:7], v8 offset1:4
	ds_read2st64_b64 v[0:3], v8 offset0:8 offset1:12
	s_waitcnt lgkmcnt(0)
	s_barrier
	ds_write_b8 v46, v41
	ds_write_b8 v47, v40
	;; [unrolled: 1-line block ×4, first 2 shown]
	s_waitcnt lgkmcnt(0)
	s_barrier
	ds_read_u8 v14, v10
	ds_read_u8 v13, v10 offset:256
	ds_read_u8 v12, v10 offset:512
	;; [unrolled: 1-line block ×3, first 2 shown]
	s_add_u32 s0, s38, s34
	s_addc_u32 s1, s39, s35
	v_mov_b32_e32 v9, s1
	v_add_co_u32_e64 v8, s[0:1], s0, v8
	v_xor_b32_e32 v5, 0x80000000, v5
	v_xor_b32_e32 v7, 0x80000000, v7
	;; [unrolled: 1-line block ×4, first 2 shown]
	s_andn2_b64 vcc, exec, s[30:31]
	v_addc_co_u32_e64 v9, s[0:1], 0, v9, s[0:1]
	s_cbranch_vccnz .LBB16_37
; %bb.36:
	v_add_co_u32_e32 v16, vcc, 0x1000, v8
	s_add_u32 s0, s42, s28
	v_addc_co_u32_e32 v17, vcc, 0, v9, vcc
	s_addc_u32 s1, s43, 0
	global_store_dwordx2 v[8:9], v[4:5], off
	global_store_dwordx2 v[8:9], v[6:7], off offset:2048
	global_store_dwordx2 v[16:17], v[0:1], off
	global_store_dwordx2 v[16:17], v[2:3], off offset:2048
	v_mov_b32_e32 v15, s1
	v_add_co_u32_e32 v16, vcc, s0, v10
	v_addc_co_u32_e32 v17, vcc, 0, v15, vcc
	s_mov_b64 s[6:7], -1
	s_waitcnt lgkmcnt(3)
	global_store_byte v[16:17], v14, off
	s_waitcnt lgkmcnt(2)
	global_store_byte v[16:17], v13, off offset:256
	s_waitcnt lgkmcnt(1)
	global_store_byte v[16:17], v12, off offset:512
	s_cbranch_execz .LBB16_38
	s_branch .LBB16_51
.LBB16_37:
	s_mov_b64 s[6:7], 0
.LBB16_38:
	v_cmp_gt_u32_e64 s[0:1], s29, v10
	s_and_saveexec_b64 s[2:3], s[0:1]
	s_cbranch_execz .LBB16_40
; %bb.39:
	global_store_dwordx2 v[8:9], v[4:5], off
.LBB16_40:
	s_or_b64 exec, exec, s[2:3]
	v_add_u32_e32 v4, 0x100, v10
	v_cmp_gt_u32_e64 s[2:3], s29, v4
	s_and_saveexec_b64 s[4:5], s[2:3]
	s_cbranch_execz .LBB16_42
; %bb.41:
	global_store_dwordx2 v[8:9], v[6:7], off offset:2048
.LBB16_42:
	s_or_b64 exec, exec, s[4:5]
	v_add_u32_e32 v4, 0x200, v10
	v_cmp_gt_u32_e64 s[4:5], s29, v4
	s_and_saveexec_b64 s[6:7], s[4:5]
	s_cbranch_execz .LBB16_44
; %bb.43:
	v_add_co_u32_e32 v4, vcc, 0x1000, v8
	v_addc_co_u32_e32 v5, vcc, 0, v9, vcc
	global_store_dwordx2 v[4:5], v[0:1], off
.LBB16_44:
	s_or_b64 exec, exec, s[6:7]
	v_add_u32_e32 v0, 0x300, v10
	v_cmp_gt_u32_e64 s[6:7], s29, v0
	s_and_saveexec_b64 s[8:9], s[6:7]
	s_cbranch_execz .LBB16_46
; %bb.45:
	v_add_co_u32_e32 v0, vcc, 0x1000, v8
	v_addc_co_u32_e32 v1, vcc, 0, v9, vcc
	global_store_dwordx2 v[0:1], v[2:3], off offset:2048
.LBB16_46:
	s_or_b64 exec, exec, s[8:9]
	s_add_u32 s8, s42, s28
	s_addc_u32 s9, s43, 0
	v_mov_b32_e32 v1, s9
	v_add_co_u32_e32 v0, vcc, s8, v10
	v_addc_co_u32_e32 v1, vcc, 0, v1, vcc
	s_and_saveexec_b64 s[8:9], s[0:1]
	s_cbranch_execnz .LBB16_57
; %bb.47:
	s_or_b64 exec, exec, s[8:9]
	s_and_saveexec_b64 s[0:1], s[2:3]
	s_cbranch_execnz .LBB16_58
.LBB16_48:
	s_or_b64 exec, exec, s[0:1]
	s_and_saveexec_b64 s[0:1], s[4:5]
	s_cbranch_execz .LBB16_50
.LBB16_49:
	s_waitcnt lgkmcnt(1)
	global_store_byte v[0:1], v12, off offset:512
.LBB16_50:
	s_or_b64 exec, exec, s[0:1]
.LBB16_51:
	s_and_saveexec_b64 s[0:1], s[6:7]
	s_cbranch_execnz .LBB16_53
; %bb.52:
	s_endpgm
.LBB16_53:
	s_add_u32 s0, s42, s28
	s_addc_u32 s1, s43, 0
	v_mov_b32_e32 v1, s1
	v_add_co_u32_e32 v0, vcc, s0, v10
	v_addc_co_u32_e32 v1, vcc, 0, v1, vcc
	s_waitcnt lgkmcnt(0)
	global_store_byte v[0:1], v11, off offset:768
	s_endpgm
.LBB16_54:
	global_load_ubyte v17, v[12:13], off
	s_or_b64 exec, exec, s[8:9]
                                        ; implicit-def: $vgpr43
	s_and_saveexec_b64 s[8:9], s[0:1]
	s_cbranch_execz .LBB16_13
.LBB16_55:
	global_load_ubyte v43, v[12:13], off offset:64
	s_or_b64 exec, exec, s[8:9]
                                        ; implicit-def: $vgpr44
	s_and_saveexec_b64 s[0:1], s[2:3]
	s_cbranch_execz .LBB16_14
.LBB16_56:
	global_load_ubyte v44, v[12:13], off offset:128
	s_or_b64 exec, exec, s[0:1]
                                        ; implicit-def: $vgpr45
	s_and_saveexec_b64 s[0:1], s[6:7]
	s_cbranch_execnz .LBB16_15
	s_branch .LBB16_16
.LBB16_57:
	s_waitcnt lgkmcnt(3)
	global_store_byte v[0:1], v14, off
	s_or_b64 exec, exec, s[8:9]
	s_and_saveexec_b64 s[0:1], s[2:3]
	s_cbranch_execz .LBB16_48
.LBB16_58:
	s_waitcnt lgkmcnt(2)
	global_store_byte v[0:1], v13, off offset:256
	s_or_b64 exec, exec, s[0:1]
	s_and_saveexec_b64 s[0:1], s[4:5]
	s_cbranch_execnz .LBB16_49
	s_branch .LBB16_50
	.section	.rodata,"a",@progbits
	.p2align	6, 0x0
	.amdhsa_kernel _ZN7rocprim17ROCPRIM_304000_NS6detail28radix_sort_block_sort_kernelINS1_36wrapped_radix_sort_block_sort_configINS0_13kernel_configILj256ELj4ELj4294967295EEElN2at4cuda3cub6detail10OpaqueTypeILi1EEEEELb0EPKlPlPKSB_PSB_NS0_19identity_decomposerEEEvT1_T2_T3_T4_jT5_jj
		.amdhsa_group_segment_fixed_size 8192
		.amdhsa_private_segment_fixed_size 0
		.amdhsa_kernarg_size 304
		.amdhsa_user_sgpr_count 6
		.amdhsa_user_sgpr_private_segment_buffer 1
		.amdhsa_user_sgpr_dispatch_ptr 0
		.amdhsa_user_sgpr_queue_ptr 0
		.amdhsa_user_sgpr_kernarg_segment_ptr 1
		.amdhsa_user_sgpr_dispatch_id 0
		.amdhsa_user_sgpr_flat_scratch_init 0
		.amdhsa_user_sgpr_kernarg_preload_length 0
		.amdhsa_user_sgpr_kernarg_preload_offset 0
		.amdhsa_user_sgpr_private_segment_size 0
		.amdhsa_uses_dynamic_stack 0
		.amdhsa_system_sgpr_private_segment_wavefront_offset 0
		.amdhsa_system_sgpr_workgroup_id_x 1
		.amdhsa_system_sgpr_workgroup_id_y 0
		.amdhsa_system_sgpr_workgroup_id_z 0
		.amdhsa_system_sgpr_workgroup_info 0
		.amdhsa_system_vgpr_workitem_id 2
		.amdhsa_next_free_vgpr 52
		.amdhsa_next_free_sgpr 46
		.amdhsa_accum_offset 52
		.amdhsa_reserve_vcc 1
		.amdhsa_reserve_flat_scratch 0
		.amdhsa_float_round_mode_32 0
		.amdhsa_float_round_mode_16_64 0
		.amdhsa_float_denorm_mode_32 3
		.amdhsa_float_denorm_mode_16_64 3
		.amdhsa_dx10_clamp 1
		.amdhsa_ieee_mode 1
		.amdhsa_fp16_overflow 0
		.amdhsa_tg_split 0
		.amdhsa_exception_fp_ieee_invalid_op 0
		.amdhsa_exception_fp_denorm_src 0
		.amdhsa_exception_fp_ieee_div_zero 0
		.amdhsa_exception_fp_ieee_overflow 0
		.amdhsa_exception_fp_ieee_underflow 0
		.amdhsa_exception_fp_ieee_inexact 0
		.amdhsa_exception_int_div_zero 0
	.end_amdhsa_kernel
	.section	.text._ZN7rocprim17ROCPRIM_304000_NS6detail28radix_sort_block_sort_kernelINS1_36wrapped_radix_sort_block_sort_configINS0_13kernel_configILj256ELj4ELj4294967295EEElN2at4cuda3cub6detail10OpaqueTypeILi1EEEEELb0EPKlPlPKSB_PSB_NS0_19identity_decomposerEEEvT1_T2_T3_T4_jT5_jj,"axG",@progbits,_ZN7rocprim17ROCPRIM_304000_NS6detail28radix_sort_block_sort_kernelINS1_36wrapped_radix_sort_block_sort_configINS0_13kernel_configILj256ELj4ELj4294967295EEElN2at4cuda3cub6detail10OpaqueTypeILi1EEEEELb0EPKlPlPKSB_PSB_NS0_19identity_decomposerEEEvT1_T2_T3_T4_jT5_jj,comdat
.Lfunc_end16:
	.size	_ZN7rocprim17ROCPRIM_304000_NS6detail28radix_sort_block_sort_kernelINS1_36wrapped_radix_sort_block_sort_configINS0_13kernel_configILj256ELj4ELj4294967295EEElN2at4cuda3cub6detail10OpaqueTypeILi1EEEEELb0EPKlPlPKSB_PSB_NS0_19identity_decomposerEEEvT1_T2_T3_T4_jT5_jj, .Lfunc_end16-_ZN7rocprim17ROCPRIM_304000_NS6detail28radix_sort_block_sort_kernelINS1_36wrapped_radix_sort_block_sort_configINS0_13kernel_configILj256ELj4ELj4294967295EEElN2at4cuda3cub6detail10OpaqueTypeILi1EEEEELb0EPKlPlPKSB_PSB_NS0_19identity_decomposerEEEvT1_T2_T3_T4_jT5_jj
                                        ; -- End function
	.section	.AMDGPU.csdata,"",@progbits
; Kernel info:
; codeLenInByte = 3848
; NumSgprs: 50
; NumVgprs: 52
; NumAgprs: 0
; TotalNumVgprs: 52
; ScratchSize: 0
; MemoryBound: 1
; FloatMode: 240
; IeeeMode: 1
; LDSByteSize: 8192 bytes/workgroup (compile time only)
; SGPRBlocks: 6
; VGPRBlocks: 6
; NumSGPRsForWavesPerEU: 50
; NumVGPRsForWavesPerEU: 52
; AccumOffset: 52
; Occupancy: 8
; WaveLimiterHint : 1
; COMPUTE_PGM_RSRC2:SCRATCH_EN: 0
; COMPUTE_PGM_RSRC2:USER_SGPR: 6
; COMPUTE_PGM_RSRC2:TRAP_HANDLER: 0
; COMPUTE_PGM_RSRC2:TGID_X_EN: 1
; COMPUTE_PGM_RSRC2:TGID_Y_EN: 0
; COMPUTE_PGM_RSRC2:TGID_Z_EN: 0
; COMPUTE_PGM_RSRC2:TIDIG_COMP_CNT: 2
; COMPUTE_PGM_RSRC3_GFX90A:ACCUM_OFFSET: 12
; COMPUTE_PGM_RSRC3_GFX90A:TG_SPLIT: 0
	.section	.text._ZN7rocprim17ROCPRIM_304000_NS6detail45device_block_merge_mergepath_partition_kernelINS1_37wrapped_merge_sort_block_merge_configINS0_14default_configElN2at4cuda3cub6detail10OpaqueTypeILi1EEEEEPljNS1_19radix_merge_compareILb0ELb0ElNS0_19identity_decomposerEEEEEvT0_T1_jPSH_T2_SH_,"axG",@progbits,_ZN7rocprim17ROCPRIM_304000_NS6detail45device_block_merge_mergepath_partition_kernelINS1_37wrapped_merge_sort_block_merge_configINS0_14default_configElN2at4cuda3cub6detail10OpaqueTypeILi1EEEEEPljNS1_19radix_merge_compareILb0ELb0ElNS0_19identity_decomposerEEEEEvT0_T1_jPSH_T2_SH_,comdat
	.protected	_ZN7rocprim17ROCPRIM_304000_NS6detail45device_block_merge_mergepath_partition_kernelINS1_37wrapped_merge_sort_block_merge_configINS0_14default_configElN2at4cuda3cub6detail10OpaqueTypeILi1EEEEEPljNS1_19radix_merge_compareILb0ELb0ElNS0_19identity_decomposerEEEEEvT0_T1_jPSH_T2_SH_ ; -- Begin function _ZN7rocprim17ROCPRIM_304000_NS6detail45device_block_merge_mergepath_partition_kernelINS1_37wrapped_merge_sort_block_merge_configINS0_14default_configElN2at4cuda3cub6detail10OpaqueTypeILi1EEEEEPljNS1_19radix_merge_compareILb0ELb0ElNS0_19identity_decomposerEEEEEvT0_T1_jPSH_T2_SH_
	.globl	_ZN7rocprim17ROCPRIM_304000_NS6detail45device_block_merge_mergepath_partition_kernelINS1_37wrapped_merge_sort_block_merge_configINS0_14default_configElN2at4cuda3cub6detail10OpaqueTypeILi1EEEEEPljNS1_19radix_merge_compareILb0ELb0ElNS0_19identity_decomposerEEEEEvT0_T1_jPSH_T2_SH_
	.p2align	8
	.type	_ZN7rocprim17ROCPRIM_304000_NS6detail45device_block_merge_mergepath_partition_kernelINS1_37wrapped_merge_sort_block_merge_configINS0_14default_configElN2at4cuda3cub6detail10OpaqueTypeILi1EEEEEPljNS1_19radix_merge_compareILb0ELb0ElNS0_19identity_decomposerEEEEEvT0_T1_jPSH_T2_SH_,@function
_ZN7rocprim17ROCPRIM_304000_NS6detail45device_block_merge_mergepath_partition_kernelINS1_37wrapped_merge_sort_block_merge_configINS0_14default_configElN2at4cuda3cub6detail10OpaqueTypeILi1EEEEEPljNS1_19radix_merge_compareILb0ELb0ElNS0_19identity_decomposerEEEEEvT0_T1_jPSH_T2_SH_: ; @_ZN7rocprim17ROCPRIM_304000_NS6detail45device_block_merge_mergepath_partition_kernelINS1_37wrapped_merge_sort_block_merge_configINS0_14default_configElN2at4cuda3cub6detail10OpaqueTypeILi1EEEEEPljNS1_19radix_merge_compareILb0ELb0ElNS0_19identity_decomposerEEEEEvT0_T1_jPSH_T2_SH_
; %bb.0:
	s_load_dwordx2 s[0:1], s[4:5], 0x8
	v_lshl_or_b32 v0, s6, 7, v0
	s_waitcnt lgkmcnt(0)
	v_cmp_gt_u32_e32 vcc, s1, v0
	s_and_saveexec_b64 s[2:3], vcc
	s_cbranch_execz .LBB17_6
; %bb.1:
	s_load_dword s1, s[4:5], 0x1c
	s_waitcnt lgkmcnt(0)
	s_lshr_b32 s2, s1, 9
	s_and_b32 s2, s2, 0x7ffffe
	s_add_i32 s3, s2, -1
	s_sub_i32 s2, 0, s2
	v_and_b32_e32 v1, s2, v0
	v_and_b32_e32 v2, s3, v0
	v_lshlrev_b32_e32 v1, 10, v1
	v_lshlrev_b32_e32 v3, 10, v2
	v_min_u32_e32 v2, s0, v1
	v_add_u32_e32 v1, s1, v1
	v_min_u32_e32 v4, s0, v1
	v_add_u32_e32 v1, s1, v4
	v_min_u32_e32 v1, s0, v1
	v_sub_u32_e32 v5, v1, v2
	v_min_u32_e32 v6, v5, v3
	v_sub_u32_e32 v3, v4, v2
	v_sub_u32_e32 v1, v1, v4
	v_sub_u32_e64 v1, v6, v1 clamp
	v_min_u32_e32 v7, v6, v3
	v_cmp_lt_u32_e32 vcc, v1, v7
	s_and_saveexec_b64 s[0:1], vcc
	s_cbranch_execz .LBB17_5
; %bb.2:
	s_load_dwordx2 s[2:3], s[4:5], 0x0
	v_mov_b32_e32 v5, 0
	v_mov_b32_e32 v3, v5
	v_lshlrev_b64 v[8:9], 3, v[2:3]
	v_lshlrev_b64 v[10:11], 3, v[4:5]
	s_waitcnt lgkmcnt(0)
	v_mov_b32_e32 v12, s3
	v_add_co_u32_e32 v3, vcc, s2, v8
	v_addc_co_u32_e32 v8, vcc, v12, v9, vcc
	v_add_co_u32_e32 v9, vcc, s2, v10
	v_addc_co_u32_e32 v10, vcc, v12, v11, vcc
	s_mov_b64 s[2:3], 0
.LBB17_3:                               ; =>This Inner Loop Header: Depth=1
	v_add_u32_e32 v4, v7, v1
	v_lshrrev_b32_e32 v4, 1, v4
	v_lshlrev_b64 v[14:15], 3, v[4:5]
	v_mov_b32_e32 v13, v5
	v_xad_u32 v12, v4, -1, v6
	v_add_co_u32_e32 v14, vcc, v3, v14
	v_addc_co_u32_e32 v15, vcc, v8, v15, vcc
	v_lshlrev_b64 v[12:13], 3, v[12:13]
	v_add_co_u32_e32 v12, vcc, v9, v12
	v_addc_co_u32_e32 v13, vcc, v10, v13, vcc
	global_load_dwordx2 v[16:17], v[14:15], off
	global_load_dwordx2 v[18:19], v[12:13], off
	v_add_u32_e32 v11, 1, v4
	s_waitcnt vmcnt(0)
	v_cmp_gt_i64_e32 vcc, v[16:17], v[18:19]
	v_cndmask_b32_e32 v7, v7, v4, vcc
	v_cndmask_b32_e32 v1, v11, v1, vcc
	v_cmp_ge_u32_e32 vcc, v1, v7
	s_or_b64 s[2:3], vcc, s[2:3]
	s_andn2_b64 exec, exec, s[2:3]
	s_cbranch_execnz .LBB17_3
; %bb.4:
	s_or_b64 exec, exec, s[2:3]
.LBB17_5:
	s_or_b64 exec, exec, s[0:1]
	s_load_dwordx2 s[0:1], s[4:5], 0x10
	v_add_u32_e32 v2, v1, v2
	v_mov_b32_e32 v1, 0
	v_lshlrev_b64 v[0:1], 2, v[0:1]
	s_waitcnt lgkmcnt(0)
	v_mov_b32_e32 v3, s1
	v_add_co_u32_e32 v0, vcc, s0, v0
	v_addc_co_u32_e32 v1, vcc, v3, v1, vcc
	global_store_dword v[0:1], v2, off
.LBB17_6:
	s_endpgm
	.section	.rodata,"a",@progbits
	.p2align	6, 0x0
	.amdhsa_kernel _ZN7rocprim17ROCPRIM_304000_NS6detail45device_block_merge_mergepath_partition_kernelINS1_37wrapped_merge_sort_block_merge_configINS0_14default_configElN2at4cuda3cub6detail10OpaqueTypeILi1EEEEEPljNS1_19radix_merge_compareILb0ELb0ElNS0_19identity_decomposerEEEEEvT0_T1_jPSH_T2_SH_
		.amdhsa_group_segment_fixed_size 0
		.amdhsa_private_segment_fixed_size 0
		.amdhsa_kernarg_size 32
		.amdhsa_user_sgpr_count 6
		.amdhsa_user_sgpr_private_segment_buffer 1
		.amdhsa_user_sgpr_dispatch_ptr 0
		.amdhsa_user_sgpr_queue_ptr 0
		.amdhsa_user_sgpr_kernarg_segment_ptr 1
		.amdhsa_user_sgpr_dispatch_id 0
		.amdhsa_user_sgpr_flat_scratch_init 0
		.amdhsa_user_sgpr_kernarg_preload_length 0
		.amdhsa_user_sgpr_kernarg_preload_offset 0
		.amdhsa_user_sgpr_private_segment_size 0
		.amdhsa_uses_dynamic_stack 0
		.amdhsa_system_sgpr_private_segment_wavefront_offset 0
		.amdhsa_system_sgpr_workgroup_id_x 1
		.amdhsa_system_sgpr_workgroup_id_y 0
		.amdhsa_system_sgpr_workgroup_id_z 0
		.amdhsa_system_sgpr_workgroup_info 0
		.amdhsa_system_vgpr_workitem_id 0
		.amdhsa_next_free_vgpr 20
		.amdhsa_next_free_sgpr 7
		.amdhsa_accum_offset 20
		.amdhsa_reserve_vcc 1
		.amdhsa_reserve_flat_scratch 0
		.amdhsa_float_round_mode_32 0
		.amdhsa_float_round_mode_16_64 0
		.amdhsa_float_denorm_mode_32 3
		.amdhsa_float_denorm_mode_16_64 3
		.amdhsa_dx10_clamp 1
		.amdhsa_ieee_mode 1
		.amdhsa_fp16_overflow 0
		.amdhsa_tg_split 0
		.amdhsa_exception_fp_ieee_invalid_op 0
		.amdhsa_exception_fp_denorm_src 0
		.amdhsa_exception_fp_ieee_div_zero 0
		.amdhsa_exception_fp_ieee_overflow 0
		.amdhsa_exception_fp_ieee_underflow 0
		.amdhsa_exception_fp_ieee_inexact 0
		.amdhsa_exception_int_div_zero 0
	.end_amdhsa_kernel
	.section	.text._ZN7rocprim17ROCPRIM_304000_NS6detail45device_block_merge_mergepath_partition_kernelINS1_37wrapped_merge_sort_block_merge_configINS0_14default_configElN2at4cuda3cub6detail10OpaqueTypeILi1EEEEEPljNS1_19radix_merge_compareILb0ELb0ElNS0_19identity_decomposerEEEEEvT0_T1_jPSH_T2_SH_,"axG",@progbits,_ZN7rocprim17ROCPRIM_304000_NS6detail45device_block_merge_mergepath_partition_kernelINS1_37wrapped_merge_sort_block_merge_configINS0_14default_configElN2at4cuda3cub6detail10OpaqueTypeILi1EEEEEPljNS1_19radix_merge_compareILb0ELb0ElNS0_19identity_decomposerEEEEEvT0_T1_jPSH_T2_SH_,comdat
.Lfunc_end17:
	.size	_ZN7rocprim17ROCPRIM_304000_NS6detail45device_block_merge_mergepath_partition_kernelINS1_37wrapped_merge_sort_block_merge_configINS0_14default_configElN2at4cuda3cub6detail10OpaqueTypeILi1EEEEEPljNS1_19radix_merge_compareILb0ELb0ElNS0_19identity_decomposerEEEEEvT0_T1_jPSH_T2_SH_, .Lfunc_end17-_ZN7rocprim17ROCPRIM_304000_NS6detail45device_block_merge_mergepath_partition_kernelINS1_37wrapped_merge_sort_block_merge_configINS0_14default_configElN2at4cuda3cub6detail10OpaqueTypeILi1EEEEEPljNS1_19radix_merge_compareILb0ELb0ElNS0_19identity_decomposerEEEEEvT0_T1_jPSH_T2_SH_
                                        ; -- End function
	.section	.AMDGPU.csdata,"",@progbits
; Kernel info:
; codeLenInByte = 364
; NumSgprs: 11
; NumVgprs: 20
; NumAgprs: 0
; TotalNumVgprs: 20
; ScratchSize: 0
; MemoryBound: 0
; FloatMode: 240
; IeeeMode: 1
; LDSByteSize: 0 bytes/workgroup (compile time only)
; SGPRBlocks: 1
; VGPRBlocks: 2
; NumSGPRsForWavesPerEU: 11
; NumVGPRsForWavesPerEU: 20
; AccumOffset: 20
; Occupancy: 8
; WaveLimiterHint : 0
; COMPUTE_PGM_RSRC2:SCRATCH_EN: 0
; COMPUTE_PGM_RSRC2:USER_SGPR: 6
; COMPUTE_PGM_RSRC2:TRAP_HANDLER: 0
; COMPUTE_PGM_RSRC2:TGID_X_EN: 1
; COMPUTE_PGM_RSRC2:TGID_Y_EN: 0
; COMPUTE_PGM_RSRC2:TGID_Z_EN: 0
; COMPUTE_PGM_RSRC2:TIDIG_COMP_CNT: 0
; COMPUTE_PGM_RSRC3_GFX90A:ACCUM_OFFSET: 4
; COMPUTE_PGM_RSRC3_GFX90A:TG_SPLIT: 0
	.section	.text._ZN7rocprim17ROCPRIM_304000_NS6detail35device_block_merge_mergepath_kernelINS1_37wrapped_merge_sort_block_merge_configINS0_14default_configElN2at4cuda3cub6detail10OpaqueTypeILi1EEEEEPlSC_PSA_SD_jNS1_19radix_merge_compareILb0ELb0ElNS0_19identity_decomposerEEEEEvT0_T1_T2_T3_T4_SL_jT5_PKSL_NS1_7vsmem_tE,"axG",@progbits,_ZN7rocprim17ROCPRIM_304000_NS6detail35device_block_merge_mergepath_kernelINS1_37wrapped_merge_sort_block_merge_configINS0_14default_configElN2at4cuda3cub6detail10OpaqueTypeILi1EEEEEPlSC_PSA_SD_jNS1_19radix_merge_compareILb0ELb0ElNS0_19identity_decomposerEEEEEvT0_T1_T2_T3_T4_SL_jT5_PKSL_NS1_7vsmem_tE,comdat
	.protected	_ZN7rocprim17ROCPRIM_304000_NS6detail35device_block_merge_mergepath_kernelINS1_37wrapped_merge_sort_block_merge_configINS0_14default_configElN2at4cuda3cub6detail10OpaqueTypeILi1EEEEEPlSC_PSA_SD_jNS1_19radix_merge_compareILb0ELb0ElNS0_19identity_decomposerEEEEEvT0_T1_T2_T3_T4_SL_jT5_PKSL_NS1_7vsmem_tE ; -- Begin function _ZN7rocprim17ROCPRIM_304000_NS6detail35device_block_merge_mergepath_kernelINS1_37wrapped_merge_sort_block_merge_configINS0_14default_configElN2at4cuda3cub6detail10OpaqueTypeILi1EEEEEPlSC_PSA_SD_jNS1_19radix_merge_compareILb0ELb0ElNS0_19identity_decomposerEEEEEvT0_T1_T2_T3_T4_SL_jT5_PKSL_NS1_7vsmem_tE
	.globl	_ZN7rocprim17ROCPRIM_304000_NS6detail35device_block_merge_mergepath_kernelINS1_37wrapped_merge_sort_block_merge_configINS0_14default_configElN2at4cuda3cub6detail10OpaqueTypeILi1EEEEEPlSC_PSA_SD_jNS1_19radix_merge_compareILb0ELb0ElNS0_19identity_decomposerEEEEEvT0_T1_T2_T3_T4_SL_jT5_PKSL_NS1_7vsmem_tE
	.p2align	8
	.type	_ZN7rocprim17ROCPRIM_304000_NS6detail35device_block_merge_mergepath_kernelINS1_37wrapped_merge_sort_block_merge_configINS0_14default_configElN2at4cuda3cub6detail10OpaqueTypeILi1EEEEEPlSC_PSA_SD_jNS1_19radix_merge_compareILb0ELb0ElNS0_19identity_decomposerEEEEEvT0_T1_T2_T3_T4_SL_jT5_PKSL_NS1_7vsmem_tE,@function
_ZN7rocprim17ROCPRIM_304000_NS6detail35device_block_merge_mergepath_kernelINS1_37wrapped_merge_sort_block_merge_configINS0_14default_configElN2at4cuda3cub6detail10OpaqueTypeILi1EEEEEPlSC_PSA_SD_jNS1_19radix_merge_compareILb0ELb0ElNS0_19identity_decomposerEEEEEvT0_T1_T2_T3_T4_SL_jT5_PKSL_NS1_7vsmem_tE: ; @_ZN7rocprim17ROCPRIM_304000_NS6detail35device_block_merge_mergepath_kernelINS1_37wrapped_merge_sort_block_merge_configINS0_14default_configElN2at4cuda3cub6detail10OpaqueTypeILi1EEEEEPlSC_PSA_SD_jNS1_19radix_merge_compareILb0ELb0ElNS0_19identity_decomposerEEEEEvT0_T1_T2_T3_T4_SL_jT5_PKSL_NS1_7vsmem_tE
; %bb.0:
	s_load_dwordx2 s[26:27], s[4:5], 0x40
	s_load_dwordx4 s[16:19], s[4:5], 0x20
	s_add_u32 s2, s4, 64
	s_addc_u32 s3, s5, 0
	s_waitcnt lgkmcnt(0)
	s_mul_i32 s0, s27, s8
	s_add_i32 s0, s0, s7
	s_mul_i32 s0, s0, s26
	s_add_i32 s0, s0, s6
	s_cmp_ge_u32 s0, s18
	s_cbranch_scc1 .LBB18_69
; %bb.1:
	s_load_dwordx8 s[8:15], s[4:5], 0x0
	s_load_dwordx2 s[18:19], s[4:5], 0x30
	s_lshr_b32 s29, s16, 10
	s_cmp_lg_u32 s0, s29
	s_mov_b32 s1, 0
	s_cselect_b64 s[20:21], -1, 0
	s_lshl_b64 s[4:5], s[0:1], 2
	s_waitcnt lgkmcnt(0)
	s_add_u32 s4, s18, s4
	s_addc_u32 s5, s19, s5
	s_load_dwordx2 s[22:23], s[4:5], 0x0
	s_lshr_b32 s4, s17, 9
	s_and_b32 s4, s4, 0x7ffffe
	s_sub_i32 s4, 0, s4
	s_and_b32 s5, s0, s4
	s_lshl_b32 s7, s5, 10
	s_lshl_b32 s18, s0, 10
	;; [unrolled: 1-line block ×3, first 2 shown]
	s_sub_i32 s19, s18, s7
	s_add_i32 s5, s5, s17
	s_add_i32 s19, s5, s19
	s_waitcnt lgkmcnt(0)
	s_sub_i32 s24, s19, s22
	s_sub_i32 s19, s19, s23
	;; [unrolled: 1-line block ×3, first 2 shown]
	s_min_u32 s24, s16, s24
	s_addk_i32 s19, 0x400
	s_or_b32 s4, s0, s4
	s_min_u32 s7, s16, s5
	s_add_i32 s5, s5, s17
	s_cmp_eq_u32 s4, -1
	s_cselect_b32 s4, s5, s19
	s_cselect_b32 s5, s7, s23
	s_min_u32 s4, s4, s16
	s_mov_b32 s23, s1
	s_sub_i32 s19, s5, s22
	s_sub_i32 s27, s4, s24
	s_lshl_b64 s[4:5], s[22:23], 3
	s_add_u32 s7, s8, s4
	s_mov_b32 s25, s1
	s_addc_u32 s28, s9, s5
	s_lshl_b64 s[4:5], s[24:25], 3
	s_add_u32 s4, s8, s4
	s_addc_u32 s5, s9, s5
	s_cmp_lt_u32 s6, s26
	v_mov_b32_e32 v9, 0
	s_cselect_b32 s1, 12, 18
	global_load_dword v1, v9, s[2:3] offset:14
	s_add_u32 s2, s2, s1
	s_addc_u32 s3, s3, 0
	global_load_ushort v2, v9, s[2:3]
	v_cmp_gt_u32_e32 vcc, s19, v0
	s_cmp_eq_u32 s0, s29
	s_waitcnt vmcnt(1)
	v_lshrrev_b32_e32 v3, 16, v1
	v_and_b32_e32 v1, 0xffff, v1
	v_mul_lo_u32 v1, v1, v3
	s_waitcnt vmcnt(0)
	v_mul_lo_u32 v14, v1, v2
	v_add_u32_e32 v12, v14, v0
	v_lshlrev_b32_e32 v1, 3, v0
	v_add_u32_e32 v10, v12, v14
	s_cbranch_scc1 .LBB18_3
; %bb.2:
	v_mov_b32_e32 v2, s28
	v_add_co_u32_e64 v4, s[0:1], s7, v1
	v_subrev_u32_e32 v8, s19, v0
	v_addc_co_u32_e64 v5, s[0:1], 0, v2, s[0:1]
	v_lshlrev_b64 v[2:3], 3, v[8:9]
	v_mov_b32_e32 v6, s5
	v_add_co_u32_e64 v2, s[0:1], s4, v2
	v_addc_co_u32_e64 v3, s[0:1], v6, v3, s[0:1]
	v_mov_b32_e32 v13, v9
	v_cndmask_b32_e32 v3, v3, v5, vcc
	v_cndmask_b32_e32 v2, v2, v4, vcc
	v_lshlrev_b64 v[4:5], 3, v[12:13]
	v_mov_b32_e32 v6, s28
	v_add_co_u32_e32 v7, vcc, s7, v4
	v_subrev_u32_e32 v8, s19, v12
	v_addc_co_u32_e32 v6, vcc, v6, v5, vcc
	v_lshlrev_b64 v[4:5], 3, v[8:9]
	v_mov_b32_e32 v8, s5
	v_add_co_u32_e32 v4, vcc, s4, v4
	v_addc_co_u32_e32 v5, vcc, v8, v5, vcc
	v_cmp_gt_u32_e32 vcc, s19, v12
	v_mov_b32_e32 v11, v9
	v_cndmask_b32_e32 v5, v5, v6, vcc
	v_cndmask_b32_e32 v4, v4, v7, vcc
	v_lshlrev_b64 v[6:7], 3, v[10:11]
	v_mov_b32_e32 v8, s28
	v_add_co_u32_e32 v11, vcc, s7, v6
	v_addc_co_u32_e32 v13, vcc, v8, v7, vcc
	v_subrev_u32_e32 v8, s19, v10
	v_lshlrev_b64 v[6:7], 3, v[8:9]
	v_mov_b32_e32 v8, s5
	v_add_co_u32_e32 v6, vcc, s4, v6
	v_addc_co_u32_e32 v7, vcc, v8, v7, vcc
	v_add_u32_e32 v8, v10, v14
	v_cmp_gt_u32_e32 vcc, s19, v10
	v_lshlrev_b64 v[16:17], 3, v[8:9]
	v_cndmask_b32_e32 v7, v7, v13, vcc
	v_cndmask_b32_e32 v6, v6, v11, vcc
	v_mov_b32_e32 v11, s28
	v_add_co_u32_e32 v13, vcc, s7, v16
	v_addc_co_u32_e32 v11, vcc, v11, v17, vcc
	v_cmp_gt_u32_e32 vcc, s19, v8
	v_subrev_u32_e32 v8, s19, v8
	v_lshlrev_b64 v[8:9], 3, v[8:9]
	v_mov_b32_e32 v15, s5
	v_add_co_u32_e64 v8, s[0:1], s4, v8
	v_addc_co_u32_e64 v9, s[0:1], v15, v9, s[0:1]
	v_cndmask_b32_e32 v9, v9, v11, vcc
	v_cndmask_b32_e32 v8, v8, v13, vcc
	global_load_dwordx2 v[2:3], v[2:3], off
	s_add_i32 s17, s27, s19
	global_load_dwordx2 v[4:5], v[4:5], off
	s_nop 0
	global_load_dwordx2 v[6:7], v[6:7], off
	s_nop 0
	global_load_dwordx2 v[8:9], v[8:9], off
	s_cbranch_execz .LBB18_4
	s_branch .LBB18_11
.LBB18_3:
                                        ; implicit-def: $vgpr2_vgpr3_vgpr4_vgpr5_vgpr6_vgpr7_vgpr8_vgpr9
                                        ; implicit-def: $sgpr17
.LBB18_4:
	s_add_i32 s17, s27, s19
	v_cmp_gt_u32_e32 vcc, s17, v0
                                        ; implicit-def: $vgpr2_vgpr3_vgpr4_vgpr5_vgpr6_vgpr7_vgpr8_vgpr9
	s_and_saveexec_b64 s[0:1], vcc
	s_cbranch_execnz .LBB18_70
; %bb.5:
	s_or_b64 exec, exec, s[0:1]
	v_cmp_gt_u32_e32 vcc, s17, v12
	s_and_saveexec_b64 s[2:3], vcc
	s_cbranch_execnz .LBB18_71
.LBB18_6:
	s_or_b64 exec, exec, s[2:3]
	v_cmp_gt_u32_e32 vcc, s17, v10
	s_and_saveexec_b64 s[0:1], vcc
	s_cbranch_execz .LBB18_8
.LBB18_7:
	v_mov_b32_e32 v11, 0
	s_waitcnt vmcnt(1)
	v_lshlrev_b64 v[6:7], 3, v[10:11]
	v_mov_b32_e32 v12, s28
	v_add_co_u32_e32 v13, vcc, s7, v6
	v_addc_co_u32_e32 v12, vcc, v12, v7, vcc
	v_subrev_u32_e32 v6, s19, v10
	v_mov_b32_e32 v7, v11
	v_lshlrev_b64 v[6:7], 3, v[6:7]
	v_mov_b32_e32 v11, s5
	v_add_co_u32_e32 v6, vcc, s4, v6
	v_addc_co_u32_e32 v7, vcc, v11, v7, vcc
	v_cmp_gt_u32_e32 vcc, s19, v10
	v_cndmask_b32_e32 v7, v7, v12, vcc
	v_cndmask_b32_e32 v6, v6, v13, vcc
	global_load_dwordx2 v[6:7], v[6:7], off
.LBB18_8:
	s_or_b64 exec, exec, s[0:1]
	v_add_u32_e32 v10, v10, v14
	v_cmp_gt_u32_e32 vcc, s17, v10
	s_and_saveexec_b64 s[2:3], vcc
	s_cbranch_execz .LBB18_10
; %bb.9:
	v_mov_b32_e32 v11, 0
	s_waitcnt vmcnt(0)
	v_lshlrev_b64 v[8:9], 3, v[10:11]
	v_mov_b32_e32 v12, s28
	v_add_co_u32_e32 v13, vcc, s7, v8
	v_addc_co_u32_e32 v12, vcc, v12, v9, vcc
	v_cmp_gt_u32_e32 vcc, s19, v10
	v_subrev_u32_e32 v10, s19, v10
	v_lshlrev_b64 v[8:9], 3, v[10:11]
	v_mov_b32_e32 v10, s5
	v_add_co_u32_e64 v8, s[0:1], s4, v8
	v_addc_co_u32_e64 v9, s[0:1], v10, v9, s[0:1]
	v_cndmask_b32_e32 v9, v9, v12, vcc
	v_cndmask_b32_e32 v8, v8, v13, vcc
	global_load_dwordx2 v[8:9], v[8:9], off
.LBB18_10:
	s_or_b64 exec, exec, s[2:3]
.LBB18_11:
	v_lshlrev_b32_e32 v14, 2, v0
	v_min_u32_e32 v11, s17, v14
	v_sub_u32_e64 v10, v11, s27 clamp
	v_min_u32_e32 v12, s19, v11
	v_cmp_lt_u32_e32 vcc, v10, v12
	s_waitcnt vmcnt(0)
	ds_write2st64_b64 v1, v[2:3], v[4:5] offset1:4
	ds_write2st64_b64 v1, v[6:7], v[8:9] offset0:8 offset1:12
	s_waitcnt lgkmcnt(0)
	s_barrier
	s_and_saveexec_b64 s[0:1], vcc
	s_cbranch_execz .LBB18_15
; %bb.12:
	v_lshlrev_b32_e32 v13, 3, v11
	v_lshl_add_u32 v13, s19, 3, v13
	s_mov_b64 s[2:3], 0
.LBB18_13:                              ; =>This Inner Loop Header: Depth=1
	v_add_u32_e32 v15, v12, v10
	v_lshrrev_b32_e32 v15, 1, v15
	v_not_b32_e32 v16, v15
	v_lshlrev_b32_e32 v17, 3, v15
	v_lshl_add_u32 v18, v16, 3, v13
	ds_read_b64 v[16:17], v17
	ds_read_b64 v[18:19], v18
	v_add_u32_e32 v20, 1, v15
	s_waitcnt lgkmcnt(0)
	v_cmp_gt_i64_e32 vcc, v[16:17], v[18:19]
	v_cndmask_b32_e32 v12, v12, v15, vcc
	v_cndmask_b32_e32 v10, v20, v10, vcc
	v_cmp_ge_u32_e32 vcc, v10, v12
	s_or_b64 s[2:3], vcc, s[2:3]
	s_andn2_b64 exec, exec, s[2:3]
	s_cbranch_execnz .LBB18_13
; %bb.14:
	s_or_b64 exec, exec, s[2:3]
.LBB18_15:
	s_or_b64 exec, exec, s[0:1]
	v_sub_u32_e32 v11, v11, v10
	v_add_u32_e32 v11, s19, v11
	v_cmp_ge_u32_e32 vcc, s19, v10
	v_cmp_ge_u32_e64 s[0:1], s17, v11
	s_or_b64 s[0:1], vcc, s[0:1]
                                        ; implicit-def: $vgpr16
                                        ; implicit-def: $vgpr18
                                        ; implicit-def: $vgpr17
                                        ; implicit-def: $vgpr15
	s_and_saveexec_b64 s[6:7], s[0:1]
	s_cbranch_execz .LBB18_21
; %bb.16:
	v_cmp_gt_u32_e32 vcc, s19, v10
                                        ; implicit-def: $vgpr2_vgpr3
	s_and_saveexec_b64 s[0:1], vcc
	s_cbranch_execz .LBB18_18
; %bb.17:
	v_lshlrev_b32_e32 v2, 3, v10
	ds_read_b64 v[2:3], v2
.LBB18_18:
	s_or_b64 exec, exec, s[0:1]
	v_cmp_le_u32_e64 s[0:1], s17, v11
	v_cmp_gt_u32_e64 s[2:3], s17, v11
                                        ; implicit-def: $vgpr4_vgpr5
	s_and_saveexec_b64 s[4:5], s[2:3]
	s_cbranch_execz .LBB18_20
; %bb.19:
	v_lshlrev_b32_e32 v4, 3, v11
	ds_read_b64 v[4:5], v4
.LBB18_20:
	s_or_b64 exec, exec, s[4:5]
	s_waitcnt lgkmcnt(0)
	v_cmp_le_i64_e64 s[2:3], v[2:3], v[4:5]
	s_and_b64 s[2:3], vcc, s[2:3]
	s_or_b64 vcc, s[0:1], s[2:3]
	v_mov_b32_e32 v16, s17
	v_mov_b32_e32 v19, s19
	v_cndmask_b32_e32 v15, v11, v10, vcc
	v_cndmask_b32_e32 v6, v16, v19, vcc
	v_add_u32_e32 v12, 1, v15
	v_add_u32_e32 v6, -1, v6
	v_min_u32_e32 v6, v12, v6
	v_lshlrev_b32_e32 v6, 3, v6
	ds_read_b64 v[6:7], v6
	v_cndmask_b32_e32 v20, v10, v12, vcc
	v_cndmask_b32_e32 v18, v12, v11, vcc
	v_cmp_gt_u32_e64 s[2:3], s19, v20
	v_cmp_le_u32_e64 s[0:1], s17, v18
	s_waitcnt lgkmcnt(0)
	v_cndmask_b32_e32 v9, v7, v5, vcc
	v_cndmask_b32_e32 v8, v6, v4, vcc
	;; [unrolled: 1-line block ×4, first 2 shown]
	v_cmp_le_i64_e64 s[4:5], v[6:7], v[8:9]
	s_and_b64 s[2:3], s[2:3], s[4:5]
	s_or_b64 s[0:1], s[0:1], s[2:3]
	v_cndmask_b32_e64 v17, v18, v20, s[0:1]
	v_cndmask_b32_e64 v10, v16, v19, s[0:1]
	v_add_u32_e32 v21, 1, v17
	v_add_u32_e32 v10, -1, v10
	v_min_u32_e32 v10, v21, v10
	v_lshlrev_b32_e32 v10, 3, v10
	ds_read_b64 v[10:11], v10
	v_cndmask_b32_e64 v23, v20, v21, s[0:1]
	v_cndmask_b32_e64 v22, v21, v18, s[0:1]
	v_cmp_gt_u32_e64 s[2:3], s19, v23
	v_cndmask_b32_e32 v3, v5, v3, vcc
	s_waitcnt lgkmcnt(0)
	v_cndmask_b32_e64 v13, v11, v9, s[0:1]
	v_cndmask_b32_e64 v12, v10, v8, s[0:1]
	;; [unrolled: 1-line block ×4, first 2 shown]
	v_cmp_le_i64_e64 s[4:5], v[10:11], v[12:13]
	v_cndmask_b32_e32 v2, v4, v2, vcc
	v_cmp_le_u32_e32 vcc, s17, v22
	s_and_b64 s[2:3], s[2:3], s[4:5]
	s_or_b64 vcc, vcc, s[2:3]
	v_cndmask_b32_e32 v18, v22, v23, vcc
	v_cndmask_b32_e32 v4, v16, v19, vcc
	v_add_u32_e32 v16, 1, v18
	v_add_u32_e32 v4, -1, v4
	v_min_u32_e32 v4, v16, v4
	v_lshlrev_b32_e32 v4, 3, v4
	ds_read_b64 v[20:21], v4
	v_cndmask_b32_e64 v5, v9, v7, s[0:1]
	v_cndmask_b32_e64 v4, v8, v6, s[0:1]
	v_cndmask_b32_e32 v7, v13, v11, vcc
	v_cndmask_b32_e32 v6, v12, v10, vcc
	s_waitcnt lgkmcnt(0)
	v_cndmask_b32_e32 v9, v21, v13, vcc
	v_cndmask_b32_e32 v8, v20, v12, vcc
	;; [unrolled: 1-line block ×6, first 2 shown]
	v_cmp_gt_u32_e64 s[0:1], s19, v13
	v_cmp_le_i64_e64 s[2:3], v[10:11], v[8:9]
	v_cmp_le_u32_e32 vcc, s17, v12
	s_and_b64 s[0:1], s[0:1], s[2:3]
	s_or_b64 vcc, vcc, s[0:1]
	v_cndmask_b32_e32 v16, v12, v13, vcc
	v_cndmask_b32_e32 v9, v9, v11, vcc
	;; [unrolled: 1-line block ×3, first 2 shown]
.LBB18_21:
	s_or_b64 exec, exec, s[6:7]
	s_add_u32 s26, s12, s22
	s_addc_u32 s28, s13, 0
	s_add_u32 s29, s12, s24
	v_cndmask_b32_e64 v10, 0, 1, s[20:21]
	s_addc_u32 s30, s13, 0
	v_cmp_gt_u32_e64 s[4:5], s19, v0
	v_cmp_ne_u32_e64 s[0:1], 1, v10
	s_andn2_b64 vcc, exec, s[20:21]
	v_cmp_le_u32_e64 s[2:3], s19, v0
	s_barrier
	s_cbranch_vccnz .LBB18_23
; %bb.22:
	v_subrev_u32_e32 v10, s19, v0
	v_mov_b32_e32 v11, s30
	v_add_co_u32_e32 v10, vcc, s29, v10
	v_addc_co_u32_e32 v11, vcc, 0, v11, vcc
	v_mov_b32_e32 v12, s28
	v_add_co_u32_e32 v13, vcc, s26, v0
	v_addc_co_u32_e32 v19, vcc, 0, v12, vcc
	v_cndmask_b32_e64 v11, v11, v19, s[4:5]
	v_cndmask_b32_e64 v10, v10, v13, s[4:5]
	s_movk_i32 s4, 0x100
	global_load_ubyte v20, v[10:11], off
	v_or_b32_e32 v10, 0x100, v0
	v_add_co_u32_e32 v12, vcc, s4, v13
	v_addc_co_u32_e32 v11, vcc, 0, v19, vcc
	v_subrev_u32_e32 v21, s19, v10
	v_mov_b32_e32 v22, s30
	v_add_co_u32_e32 v21, vcc, s29, v21
	v_addc_co_u32_e32 v22, vcc, 0, v22, vcc
	v_cmp_gt_u32_e32 vcc, s19, v10
	v_cndmask_b32_e32 v11, v22, v11, vcc
	v_cndmask_b32_e32 v10, v21, v12, vcc
	s_movk_i32 s4, 0x200
	global_load_ubyte v21, v[10:11], off
	v_or_b32_e32 v10, 0x200, v0
	v_add_co_u32_e32 v12, vcc, s4, v13
	v_addc_co_u32_e32 v11, vcc, 0, v19, vcc
	v_subrev_u32_e32 v22, s19, v10
	v_mov_b32_e32 v23, s30
	v_add_co_u32_e32 v22, vcc, s29, v22
	v_addc_co_u32_e32 v23, vcc, 0, v23, vcc
	v_cmp_gt_u32_e32 vcc, s19, v10
	v_cndmask_b32_e32 v11, v23, v11, vcc
	v_cndmask_b32_e32 v10, v22, v12, vcc
	global_load_ubyte v22, v[10:11], off
	v_or_b32_e32 v12, 0x300, v0
	v_subrev_u32_e32 v11, s19, v12
	v_mov_b32_e32 v10, s30
	v_add_co_u32_e32 v23, vcc, s29, v11
	s_movk_i32 s4, 0x300
	v_addc_co_u32_e32 v10, vcc, 0, v10, vcc
	v_add_co_u32_e32 v13, vcc, s4, v13
	v_addc_co_u32_e32 v11, vcc, 0, v19, vcc
	v_cmp_gt_u32_e32 vcc, s19, v12
	v_cndmask_b32_e32 v11, v10, v11, vcc
	v_cndmask_b32_e32 v10, v23, v13, vcc
	s_mov_b64 s[4:5], -1
	s_waitcnt vmcnt(2)
	ds_write_b8 v0, v20
	s_waitcnt vmcnt(1)
	ds_write_b8 v0, v21 offset:256
	s_waitcnt vmcnt(0)
	ds_write_b8 v0, v22 offset:512
	s_cbranch_execz .LBB18_24
	s_branch .LBB18_43
.LBB18_23:
	s_mov_b64 s[4:5], 0
                                        ; implicit-def: $vgpr12
                                        ; implicit-def: $vgpr10_vgpr11
.LBB18_24:
	s_mov_b64 s[6:7], 0
                                        ; implicit-def: $vgpr10_vgpr11
	s_and_saveexec_b64 s[8:9], s[2:3]
	s_xor_b64 s[2:3], exec, s[8:9]
	s_cbranch_execnz .LBB18_72
; %bb.25:
	s_andn2_saveexec_b64 s[2:3], s[2:3]
	s_cbranch_execnz .LBB18_75
.LBB18_26:
	s_or_b64 exec, exec, s[2:3]
	s_and_saveexec_b64 s[2:3], s[6:7]
	s_cbranch_execz .LBB18_28
.LBB18_27:
	global_load_ubyte v10, v[10:11], off
	s_waitcnt vmcnt(0)
	ds_write_b8 v0, v10
.LBB18_28:
	s_or_b64 exec, exec, s[2:3]
	v_or_b32_e32 v12, 0x100, v0
	v_cmp_le_u32_e32 vcc, s19, v12
	s_mov_b64 s[2:3], -1
	v_pk_mov_b32 v[10:11], s[22:23], s[22:23] op_sel:[0,1]
	s_and_saveexec_b64 s[6:7], vcc
; %bb.29:
	v_subrev_u32_e32 v12, s19, v12
	v_cmp_gt_u32_e32 vcc, s27, v12
	v_pk_mov_b32 v[10:11], s[24:25], s[24:25] op_sel:[0,1]
	s_orn2_b64 s[2:3], vcc, exec
; %bb.30:
	s_or_b64 exec, exec, s[6:7]
	s_and_saveexec_b64 s[6:7], s[2:3]
	s_cbranch_execz .LBB18_32
; %bb.31:
	v_mov_b32_e32 v13, s13
	v_add_co_u32_e32 v10, vcc, s12, v10
	v_addc_co_u32_e32 v11, vcc, v13, v11, vcc
	v_add_co_u32_e32 v10, vcc, v10, v12
	v_addc_co_u32_e32 v11, vcc, 0, v11, vcc
	global_load_ubyte v10, v[10:11], off
	s_waitcnt vmcnt(0)
	ds_write_b8 v0, v10 offset:256
.LBB18_32:
	s_or_b64 exec, exec, s[6:7]
	v_or_b32_e32 v12, 0x200, v0
	v_cmp_le_u32_e32 vcc, s19, v12
	s_mov_b64 s[2:3], -1
	v_pk_mov_b32 v[10:11], s[22:23], s[22:23] op_sel:[0,1]
	s_and_saveexec_b64 s[6:7], vcc
; %bb.33:
	v_subrev_u32_e32 v12, s19, v12
	v_cmp_gt_u32_e32 vcc, s27, v12
	v_pk_mov_b32 v[10:11], s[24:25], s[24:25] op_sel:[0,1]
	s_orn2_b64 s[2:3], vcc, exec
; %bb.34:
	s_or_b64 exec, exec, s[6:7]
	s_and_saveexec_b64 s[6:7], s[2:3]
	s_cbranch_execz .LBB18_36
; %bb.35:
	v_mov_b32_e32 v13, s13
	v_add_co_u32_e32 v10, vcc, s12, v10
	v_addc_co_u32_e32 v11, vcc, v13, v11, vcc
	v_add_co_u32_e32 v10, vcc, v10, v12
	v_addc_co_u32_e32 v11, vcc, 0, v11, vcc
	global_load_ubyte v10, v[10:11], off
	s_waitcnt vmcnt(0)
	ds_write_b8 v0, v10 offset:512
.LBB18_36:
	s_or_b64 exec, exec, s[6:7]
	v_or_b32_e32 v13, 0x300, v0
	v_cmp_le_u32_e32 vcc, s19, v13
                                        ; implicit-def: $vgpr12
                                        ; implicit-def: $vgpr10_vgpr11
	s_and_saveexec_b64 s[2:3], vcc
	s_xor_b64 s[2:3], exec, s[2:3]
	s_cbranch_execz .LBB18_40
; %bb.37:
	v_subrev_u32_e32 v13, s19, v13
	v_cmp_gt_u32_e32 vcc, s27, v13
	s_mov_b64 s[8:9], s[4:5]
                                        ; implicit-def: $vgpr12
                                        ; implicit-def: $vgpr10_vgpr11
	s_and_saveexec_b64 s[6:7], vcc
; %bb.38:
	v_mov_b32_e32 v11, s30
	v_add_co_u32_e32 v10, vcc, s29, v13
	v_or_b32_e32 v12, 0x300, v0
	v_addc_co_u32_e32 v11, vcc, 0, v11, vcc
	s_or_b64 s[8:9], s[4:5], exec
; %bb.39:
	s_or_b64 exec, exec, s[6:7]
	s_andn2_b64 s[4:5], s[4:5], exec
	s_and_b64 s[6:7], s[8:9], exec
	s_or_b64 s[4:5], s[4:5], s[6:7]
.LBB18_40:
	s_andn2_saveexec_b64 s[2:3], s[2:3]
; %bb.41:
	v_mov_b32_e32 v10, s28
	v_add_co_u32_e32 v11, vcc, s26, v0
	v_addc_co_u32_e32 v12, vcc, 0, v10, vcc
	v_add_co_u32_e32 v10, vcc, 0x300, v11
	v_addc_co_u32_e32 v11, vcc, 0, v12, vcc
	v_or_b32_e32 v12, 0x300, v0
	s_or_b64 s[4:5], s[4:5], exec
; %bb.42:
	s_or_b64 exec, exec, s[2:3]
.LBB18_43:
	s_and_saveexec_b64 s[2:3], s[4:5]
	s_cbranch_execz .LBB18_45
; %bb.44:
	global_load_ubyte v10, v[10:11], off
	s_waitcnt vmcnt(0)
	ds_write_b8 v12, v10
.LBB18_45:
	s_or_b64 exec, exec, s[2:3]
	s_and_b64 vcc, exec, s[0:1]
	v_add_u32_e32 v10, s18, v14
	s_waitcnt lgkmcnt(0)
	s_barrier
	s_cbranch_vccnz .LBB18_47
; %bb.46:
	ds_read_u8 v11, v17
	ds_read_u8 v12, v18
	;; [unrolled: 1-line block ×3, first 2 shown]
	v_mov_b32_e32 v13, 0
	s_waitcnt lgkmcnt(2)
	v_lshlrev_b16_e32 v11, 8, v11
	s_mov_b64 s[0:1], -1
	s_waitcnt lgkmcnt(0)
	v_or_b32_e32 v11, v19, v11
	global_store_byte v10, v12, s[14:15] offset:2
	global_store_short v10, v11, s[14:15]
	s_cbranch_execz .LBB18_48
	s_branch .LBB18_57
.LBB18_47:
	s_mov_b64 s[0:1], 0
                                        ; implicit-def: $vgpr12_vgpr13
.LBB18_48:
	v_cmp_gt_u32_e32 vcc, s17, v14
	s_and_saveexec_b64 s[2:3], vcc
	s_cbranch_execz .LBB18_50
; %bb.49:
	ds_read_u8 v11, v15
	s_waitcnt lgkmcnt(0)
	global_store_byte v10, v11, s[14:15]
.LBB18_50:
	s_or_b64 exec, exec, s[2:3]
	v_or_b32_e32 v11, 1, v14
	v_cmp_gt_u32_e32 vcc, s17, v11
	s_and_saveexec_b64 s[2:3], vcc
	s_cbranch_execz .LBB18_52
; %bb.51:
	ds_read_u8 v11, v17
	s_waitcnt lgkmcnt(0)
	global_store_byte v10, v11, s[14:15] offset:1
.LBB18_52:
	s_or_b64 exec, exec, s[2:3]
	v_or_b32_e32 v11, 2, v14
	v_cmp_gt_u32_e32 vcc, s17, v11
	s_and_saveexec_b64 s[2:3], vcc
	s_cbranch_execz .LBB18_54
; %bb.53:
	ds_read_u8 v11, v18
	s_waitcnt lgkmcnt(0)
	global_store_byte v10, v11, s[14:15] offset:2
.LBB18_54:
	s_or_b64 exec, exec, s[2:3]
	v_or_b32_e32 v11, 3, v14
	v_cmp_gt_u32_e32 vcc, s17, v11
	s_and_saveexec_b64 s[2:3], vcc
                                        ; implicit-def: $vgpr12_vgpr13
; %bb.55:
	v_mov_b32_e32 v13, 0
	s_or_b64 s[0:1], s[0:1], exec
; %bb.56:
	s_or_b64 exec, exec, s[2:3]
.LBB18_57:
	s_and_saveexec_b64 s[2:3], s[0:1]
	s_cbranch_execz .LBB18_59
; %bb.58:
	ds_read_u8 v12, v16
	v_mov_b32_e32 v11, s15
	v_add_co_u32_e32 v10, vcc, s14, v10
	v_addc_co_u32_e32 v11, vcc, v11, v13, vcc
	s_waitcnt lgkmcnt(0)
	global_store_byte v[10:11], v12, off offset:3
.LBB18_59:
	s_or_b64 exec, exec, s[2:3]
	v_and_b32_e32 v10, 0xf8, v0
	v_lshl_add_u32 v10, v14, 3, v10
	s_barrier
	s_barrier
	ds_write2_b64 v10, v[2:3], v[4:5] offset1:1
	ds_write2_b64 v10, v[6:7], v[8:9] offset0:2 offset1:3
	v_lshrrev_b32_e32 v2, 2, v0
	v_and_b32_e32 v2, 56, v2
	v_or_b32_e32 v12, 0x100, v0
	v_add_u32_e32 v13, v1, v2
	v_lshrrev_b32_e32 v2, 2, v12
	v_and_b32_e32 v2, 0x78, v2
	v_or_b32_e32 v11, 0x200, v0
	s_mov_b32 s19, 0
	v_add_u32_e32 v6, v1, v2
	v_lshrrev_b32_e32 v2, 2, v11
	s_lshl_b64 s[0:1], s[18:19], 3
	v_and_b32_e32 v2, 0xb8, v2
	v_or_b32_e32 v10, 0x300, v0
	s_add_u32 s0, s10, s0
	v_add_u32_e32 v7, v1, v2
	v_lshrrev_b32_e32 v2, 2, v10
	s_addc_u32 s1, s11, s1
	v_and_b32_e32 v2, 0xf8, v2
	v_add_u32_e32 v14, v1, v2
	v_mov_b32_e32 v3, s1
	v_add_co_u32_e32 v2, vcc, s0, v1
	v_addc_co_u32_e32 v3, vcc, 0, v3, vcc
	s_and_b64 vcc, exec, s[20:21]
	s_waitcnt lgkmcnt(0)
	s_cbranch_vccz .LBB18_61
; %bb.60:
	s_barrier
	ds_read_b64 v[8:9], v13
	ds_read_b64 v[16:17], v6 offset:2048
	ds_read_b64 v[18:19], v7 offset:4096
	;; [unrolled: 1-line block ×3, first 2 shown]
	s_waitcnt lgkmcnt(3)
	global_store_dwordx2 v[2:3], v[8:9], off
	s_waitcnt lgkmcnt(2)
	global_store_dwordx2 v[2:3], v[16:17], off offset:2048
	v_add_co_u32_e32 v8, vcc, 0x1000, v2
	v_addc_co_u32_e32 v9, vcc, 0, v3, vcc
	s_waitcnt lgkmcnt(1)
	global_store_dwordx2 v[8:9], v[18:19], off
	s_mov_b64 s[0:1], -1
	s_cbranch_execz .LBB18_62
	s_branch .LBB18_67
.LBB18_61:
	s_mov_b64 s[0:1], 0
                                        ; implicit-def: $vgpr4_vgpr5
.LBB18_62:
	s_barrier
	s_waitcnt lgkmcnt(0)
	ds_read_b64 v[8:9], v6 offset:2048
	ds_read_b64 v[6:7], v7 offset:4096
	;; [unrolled: 1-line block ×3, first 2 shown]
	s_sub_i32 s2, s16, s18
	v_cmp_gt_u32_e32 vcc, s2, v0
	s_and_saveexec_b64 s[0:1], vcc
	s_cbranch_execnz .LBB18_76
; %bb.63:
	s_or_b64 exec, exec, s[0:1]
	v_cmp_gt_u32_e32 vcc, s2, v12
	s_and_saveexec_b64 s[0:1], vcc
	s_cbranch_execnz .LBB18_77
.LBB18_64:
	s_or_b64 exec, exec, s[0:1]
	v_cmp_gt_u32_e32 vcc, s2, v11
	s_and_saveexec_b64 s[0:1], vcc
	s_cbranch_execz .LBB18_66
.LBB18_65:
	v_add_co_u32_e32 v0, vcc, 0x1000, v2
	v_addc_co_u32_e32 v1, vcc, 0, v3, vcc
	s_waitcnt lgkmcnt(1)
	global_store_dwordx2 v[0:1], v[6:7], off
.LBB18_66:
	s_or_b64 exec, exec, s[0:1]
	v_cmp_gt_u32_e64 s[0:1], s2, v10
.LBB18_67:
	s_and_saveexec_b64 s[2:3], s[0:1]
	s_cbranch_execz .LBB18_69
; %bb.68:
	v_add_co_u32_e32 v0, vcc, 0x1000, v2
	v_addc_co_u32_e32 v1, vcc, 0, v3, vcc
	s_waitcnt lgkmcnt(0)
	global_store_dwordx2 v[0:1], v[4:5], off offset:2048
.LBB18_69:
	s_endpgm
.LBB18_70:
	s_waitcnt vmcnt(3)
	v_mov_b32_e32 v2, s28
	s_waitcnt vmcnt(2)
	v_add_co_u32_e32 v4, vcc, s7, v1
	v_mov_b32_e32 v3, 0
	v_addc_co_u32_e32 v5, vcc, 0, v2, vcc
	v_subrev_u32_e32 v2, s19, v0
	v_lshlrev_b64 v[2:3], 3, v[2:3]
	s_waitcnt vmcnt(1)
	v_mov_b32_e32 v6, s5
	v_add_co_u32_e32 v2, vcc, s4, v2
	v_addc_co_u32_e32 v3, vcc, v6, v3, vcc
	v_cmp_gt_u32_e32 vcc, s19, v0
	v_cndmask_b32_e32 v3, v3, v5, vcc
	v_cndmask_b32_e32 v2, v2, v4, vcc
	global_load_dwordx2 v[2:3], v[2:3], off
	s_or_b64 exec, exec, s[0:1]
	v_cmp_gt_u32_e32 vcc, s17, v12
	s_and_saveexec_b64 s[2:3], vcc
	s_cbranch_execz .LBB18_6
.LBB18_71:
	v_mov_b32_e32 v13, 0
	s_waitcnt vmcnt(2)
	v_lshlrev_b64 v[4:5], 3, v[12:13]
	v_mov_b32_e32 v11, s28
	v_add_co_u32_e32 v15, vcc, s7, v4
	v_addc_co_u32_e32 v11, vcc, v11, v5, vcc
	v_cmp_gt_u32_e32 vcc, s19, v12
	v_subrev_u32_e32 v12, s19, v12
	v_lshlrev_b64 v[4:5], 3, v[12:13]
	v_mov_b32_e32 v12, s5
	v_add_co_u32_e64 v4, s[0:1], s4, v4
	v_addc_co_u32_e64 v5, s[0:1], v12, v5, s[0:1]
	v_cndmask_b32_e32 v5, v5, v11, vcc
	v_cndmask_b32_e32 v4, v4, v15, vcc
	global_load_dwordx2 v[4:5], v[4:5], off
	s_or_b64 exec, exec, s[2:3]
	v_cmp_gt_u32_e32 vcc, s17, v10
	s_and_saveexec_b64 s[0:1], vcc
	s_cbranch_execnz .LBB18_7
	s_branch .LBB18_8
.LBB18_72:
	v_subrev_u32_e32 v12, s19, v0
	v_cmp_gt_u32_e32 vcc, s27, v12
                                        ; implicit-def: $vgpr10_vgpr11
	s_and_saveexec_b64 s[8:9], vcc
	s_xor_b64 s[8:9], exec, s[8:9]
; %bb.73:
	v_mov_b32_e32 v11, s30
	v_add_co_u32_e32 v10, vcc, s29, v12
	s_mov_b64 s[6:7], exec
	v_addc_co_u32_e32 v11, vcc, 0, v11, vcc
; %bb.74:
	s_or_b64 exec, exec, s[8:9]
	s_and_b64 s[6:7], s[6:7], exec
	s_andn2_saveexec_b64 s[2:3], s[2:3]
	s_cbranch_execz .LBB18_26
.LBB18_75:
	v_mov_b32_e32 v11, s28
	v_add_co_u32_e32 v10, vcc, s26, v0
	v_addc_co_u32_e32 v11, vcc, 0, v11, vcc
	s_or_b64 s[6:7], s[6:7], exec
	s_or_b64 exec, exec, s[2:3]
	s_and_saveexec_b64 s[2:3], s[6:7]
	s_cbranch_execnz .LBB18_27
	s_branch .LBB18_28
.LBB18_76:
	ds_read_b64 v[0:1], v13
	s_waitcnt lgkmcnt(0)
	global_store_dwordx2 v[2:3], v[0:1], off
	s_or_b64 exec, exec, s[0:1]
	v_cmp_gt_u32_e32 vcc, s2, v12
	s_and_saveexec_b64 s[0:1], vcc
	s_cbranch_execz .LBB18_64
.LBB18_77:
	s_waitcnt lgkmcnt(2)
	global_store_dwordx2 v[2:3], v[8:9], off offset:2048
	s_or_b64 exec, exec, s[0:1]
	v_cmp_gt_u32_e32 vcc, s2, v11
	s_and_saveexec_b64 s[0:1], vcc
	s_cbranch_execnz .LBB18_65
	s_branch .LBB18_66
	.section	.rodata,"a",@progbits
	.p2align	6, 0x0
	.amdhsa_kernel _ZN7rocprim17ROCPRIM_304000_NS6detail35device_block_merge_mergepath_kernelINS1_37wrapped_merge_sort_block_merge_configINS0_14default_configElN2at4cuda3cub6detail10OpaqueTypeILi1EEEEEPlSC_PSA_SD_jNS1_19radix_merge_compareILb0ELb0ElNS0_19identity_decomposerEEEEEvT0_T1_T2_T3_T4_SL_jT5_PKSL_NS1_7vsmem_tE
		.amdhsa_group_segment_fixed_size 8448
		.amdhsa_private_segment_fixed_size 0
		.amdhsa_kernarg_size 320
		.amdhsa_user_sgpr_count 6
		.amdhsa_user_sgpr_private_segment_buffer 1
		.amdhsa_user_sgpr_dispatch_ptr 0
		.amdhsa_user_sgpr_queue_ptr 0
		.amdhsa_user_sgpr_kernarg_segment_ptr 1
		.amdhsa_user_sgpr_dispatch_id 0
		.amdhsa_user_sgpr_flat_scratch_init 0
		.amdhsa_user_sgpr_kernarg_preload_length 0
		.amdhsa_user_sgpr_kernarg_preload_offset 0
		.amdhsa_user_sgpr_private_segment_size 0
		.amdhsa_uses_dynamic_stack 0
		.amdhsa_system_sgpr_private_segment_wavefront_offset 0
		.amdhsa_system_sgpr_workgroup_id_x 1
		.amdhsa_system_sgpr_workgroup_id_y 1
		.amdhsa_system_sgpr_workgroup_id_z 1
		.amdhsa_system_sgpr_workgroup_info 0
		.amdhsa_system_vgpr_workitem_id 0
		.amdhsa_next_free_vgpr 24
		.amdhsa_next_free_sgpr 31
		.amdhsa_accum_offset 24
		.amdhsa_reserve_vcc 1
		.amdhsa_reserve_flat_scratch 0
		.amdhsa_float_round_mode_32 0
		.amdhsa_float_round_mode_16_64 0
		.amdhsa_float_denorm_mode_32 3
		.amdhsa_float_denorm_mode_16_64 3
		.amdhsa_dx10_clamp 1
		.amdhsa_ieee_mode 1
		.amdhsa_fp16_overflow 0
		.amdhsa_tg_split 0
		.amdhsa_exception_fp_ieee_invalid_op 0
		.amdhsa_exception_fp_denorm_src 0
		.amdhsa_exception_fp_ieee_div_zero 0
		.amdhsa_exception_fp_ieee_overflow 0
		.amdhsa_exception_fp_ieee_underflow 0
		.amdhsa_exception_fp_ieee_inexact 0
		.amdhsa_exception_int_div_zero 0
	.end_amdhsa_kernel
	.section	.text._ZN7rocprim17ROCPRIM_304000_NS6detail35device_block_merge_mergepath_kernelINS1_37wrapped_merge_sort_block_merge_configINS0_14default_configElN2at4cuda3cub6detail10OpaqueTypeILi1EEEEEPlSC_PSA_SD_jNS1_19radix_merge_compareILb0ELb0ElNS0_19identity_decomposerEEEEEvT0_T1_T2_T3_T4_SL_jT5_PKSL_NS1_7vsmem_tE,"axG",@progbits,_ZN7rocprim17ROCPRIM_304000_NS6detail35device_block_merge_mergepath_kernelINS1_37wrapped_merge_sort_block_merge_configINS0_14default_configElN2at4cuda3cub6detail10OpaqueTypeILi1EEEEEPlSC_PSA_SD_jNS1_19radix_merge_compareILb0ELb0ElNS0_19identity_decomposerEEEEEvT0_T1_T2_T3_T4_SL_jT5_PKSL_NS1_7vsmem_tE,comdat
.Lfunc_end18:
	.size	_ZN7rocprim17ROCPRIM_304000_NS6detail35device_block_merge_mergepath_kernelINS1_37wrapped_merge_sort_block_merge_configINS0_14default_configElN2at4cuda3cub6detail10OpaqueTypeILi1EEEEEPlSC_PSA_SD_jNS1_19radix_merge_compareILb0ELb0ElNS0_19identity_decomposerEEEEEvT0_T1_T2_T3_T4_SL_jT5_PKSL_NS1_7vsmem_tE, .Lfunc_end18-_ZN7rocprim17ROCPRIM_304000_NS6detail35device_block_merge_mergepath_kernelINS1_37wrapped_merge_sort_block_merge_configINS0_14default_configElN2at4cuda3cub6detail10OpaqueTypeILi1EEEEEPlSC_PSA_SD_jNS1_19radix_merge_compareILb0ELb0ElNS0_19identity_decomposerEEEEEvT0_T1_T2_T3_T4_SL_jT5_PKSL_NS1_7vsmem_tE
                                        ; -- End function
	.section	.AMDGPU.csdata,"",@progbits
; Kernel info:
; codeLenInByte = 3284
; NumSgprs: 35
; NumVgprs: 24
; NumAgprs: 0
; TotalNumVgprs: 24
; ScratchSize: 0
; MemoryBound: 0
; FloatMode: 240
; IeeeMode: 1
; LDSByteSize: 8448 bytes/workgroup (compile time only)
; SGPRBlocks: 4
; VGPRBlocks: 2
; NumSGPRsForWavesPerEU: 35
; NumVGPRsForWavesPerEU: 24
; AccumOffset: 24
; Occupancy: 7
; WaveLimiterHint : 1
; COMPUTE_PGM_RSRC2:SCRATCH_EN: 0
; COMPUTE_PGM_RSRC2:USER_SGPR: 6
; COMPUTE_PGM_RSRC2:TRAP_HANDLER: 0
; COMPUTE_PGM_RSRC2:TGID_X_EN: 1
; COMPUTE_PGM_RSRC2:TGID_Y_EN: 1
; COMPUTE_PGM_RSRC2:TGID_Z_EN: 1
; COMPUTE_PGM_RSRC2:TIDIG_COMP_CNT: 0
; COMPUTE_PGM_RSRC3_GFX90A:ACCUM_OFFSET: 5
; COMPUTE_PGM_RSRC3_GFX90A:TG_SPLIT: 0
	.section	.text._ZN7rocprim17ROCPRIM_304000_NS6detail33device_block_merge_oddeven_kernelINS1_37wrapped_merge_sort_block_merge_configINS0_14default_configElN2at4cuda3cub6detail10OpaqueTypeILi1EEEEEPlSC_PSA_SD_jNS1_19radix_merge_compareILb0ELb0ElNS0_19identity_decomposerEEEEEvT0_T1_T2_T3_T4_SL_T5_,"axG",@progbits,_ZN7rocprim17ROCPRIM_304000_NS6detail33device_block_merge_oddeven_kernelINS1_37wrapped_merge_sort_block_merge_configINS0_14default_configElN2at4cuda3cub6detail10OpaqueTypeILi1EEEEEPlSC_PSA_SD_jNS1_19radix_merge_compareILb0ELb0ElNS0_19identity_decomposerEEEEEvT0_T1_T2_T3_T4_SL_T5_,comdat
	.protected	_ZN7rocprim17ROCPRIM_304000_NS6detail33device_block_merge_oddeven_kernelINS1_37wrapped_merge_sort_block_merge_configINS0_14default_configElN2at4cuda3cub6detail10OpaqueTypeILi1EEEEEPlSC_PSA_SD_jNS1_19radix_merge_compareILb0ELb0ElNS0_19identity_decomposerEEEEEvT0_T1_T2_T3_T4_SL_T5_ ; -- Begin function _ZN7rocprim17ROCPRIM_304000_NS6detail33device_block_merge_oddeven_kernelINS1_37wrapped_merge_sort_block_merge_configINS0_14default_configElN2at4cuda3cub6detail10OpaqueTypeILi1EEEEEPlSC_PSA_SD_jNS1_19radix_merge_compareILb0ELb0ElNS0_19identity_decomposerEEEEEvT0_T1_T2_T3_T4_SL_T5_
	.globl	_ZN7rocprim17ROCPRIM_304000_NS6detail33device_block_merge_oddeven_kernelINS1_37wrapped_merge_sort_block_merge_configINS0_14default_configElN2at4cuda3cub6detail10OpaqueTypeILi1EEEEEPlSC_PSA_SD_jNS1_19radix_merge_compareILb0ELb0ElNS0_19identity_decomposerEEEEEvT0_T1_T2_T3_T4_SL_T5_
	.p2align	8
	.type	_ZN7rocprim17ROCPRIM_304000_NS6detail33device_block_merge_oddeven_kernelINS1_37wrapped_merge_sort_block_merge_configINS0_14default_configElN2at4cuda3cub6detail10OpaqueTypeILi1EEEEEPlSC_PSA_SD_jNS1_19radix_merge_compareILb0ELb0ElNS0_19identity_decomposerEEEEEvT0_T1_T2_T3_T4_SL_T5_,@function
_ZN7rocprim17ROCPRIM_304000_NS6detail33device_block_merge_oddeven_kernelINS1_37wrapped_merge_sort_block_merge_configINS0_14default_configElN2at4cuda3cub6detail10OpaqueTypeILi1EEEEEPlSC_PSA_SD_jNS1_19radix_merge_compareILb0ELb0ElNS0_19identity_decomposerEEEEEvT0_T1_T2_T3_T4_SL_T5_: ; @_ZN7rocprim17ROCPRIM_304000_NS6detail33device_block_merge_oddeven_kernelINS1_37wrapped_merge_sort_block_merge_configINS0_14default_configElN2at4cuda3cub6detail10OpaqueTypeILi1EEEEEPlSC_PSA_SD_jNS1_19radix_merge_compareILb0ELb0ElNS0_19identity_decomposerEEEEEvT0_T1_T2_T3_T4_SL_T5_
; %bb.0:
	s_load_dwordx2 s[16:17], s[4:5], 0x20
	s_waitcnt lgkmcnt(0)
	s_lshr_b32 s2, s16, 8
	s_cmp_lg_u32 s6, s2
	s_cselect_b64 s[0:1], -1, 0
	s_cmp_eq_u32 s6, s2
	s_cselect_b64 s[18:19], -1, 0
	s_lshl_b32 s20, s6, 8
	s_sub_i32 s2, s16, s20
	v_cmp_gt_u32_e64 s[2:3], s2, v0
	s_or_b64 s[0:1], s[0:1], s[2:3]
	s_and_saveexec_b64 s[8:9], s[0:1]
	s_cbranch_execz .LBB19_26
; %bb.1:
	s_load_dwordx8 s[8:15], s[4:5], 0x0
	s_mov_b32 s21, 0
	s_lshl_b64 s[0:1], s[20:21], 3
	v_lshlrev_b32_e32 v1, 3, v0
	v_add_u32_e32 v4, s20, v0
	s_waitcnt lgkmcnt(0)
	s_add_u32 s0, s8, s0
	s_addc_u32 s1, s9, s1
	s_add_u32 s4, s12, s20
	s_addc_u32 s5, s13, 0
	global_load_ubyte v6, v0, s[4:5]
	global_load_dwordx2 v[2:3], v1, s[0:1]
	s_lshr_b32 s0, s17, 8
	s_sub_i32 s1, 0, s0
	s_and_b32 s1, s6, s1
	s_and_b32 s0, s1, s0
	s_lshl_b32 s22, s1, 8
	s_sub_i32 s6, 0, s17
	s_cmp_eq_u32 s0, 0
	s_cselect_b64 s[0:1], -1, 0
	s_and_b64 s[4:5], s[0:1], exec
	s_cselect_b32 s21, s17, s6
	s_add_i32 s21, s21, s22
	s_cmp_lt_u32 s21, s16
	s_cbranch_scc1 .LBB19_6
; %bb.2:
	s_and_b64 vcc, exec, s[18:19]
	s_cbranch_vccz .LBB19_7
; %bb.3:
	v_cmp_gt_u32_e32 vcc, s16, v4
	s_mov_b64 s[6:7], 0
	s_mov_b64 s[4:5], 0
                                        ; implicit-def: $vgpr0_vgpr1
	s_and_saveexec_b64 s[12:13], vcc
	s_cbranch_execz .LBB19_5
; %bb.4:
	v_mov_b32_e32 v5, 0
	v_mov_b32_e32 v1, s15
	v_add_co_u32_e32 v0, vcc, s14, v4
	v_addc_co_u32_e32 v1, vcc, 0, v1, vcc
	v_lshlrev_b64 v[8:9], 3, v[4:5]
	v_mov_b32_e32 v5, s11
	v_add_co_u32_e32 v8, vcc, s10, v8
	s_mov_b64 s[4:5], exec
	v_addc_co_u32_e32 v9, vcc, v5, v9, vcc
	s_waitcnt vmcnt(0)
	global_store_dwordx2 v[8:9], v[2:3], off
.LBB19_5:
	s_or_b64 exec, exec, s[12:13]
	s_and_b64 vcc, exec, s[6:7]
	s_cbranch_vccnz .LBB19_8
	s_branch .LBB19_9
.LBB19_6:
	s_mov_b64 s[4:5], 0
                                        ; implicit-def: $vgpr0_vgpr1
	s_cbranch_execnz .LBB19_10
	s_branch .LBB19_24
.LBB19_7:
	s_mov_b64 s[4:5], 0
                                        ; implicit-def: $vgpr0_vgpr1
	s_cbranch_execz .LBB19_9
.LBB19_8:
	v_mov_b32_e32 v5, 0
	v_lshlrev_b64 v[0:1], 3, v[4:5]
	v_mov_b32_e32 v5, s11
	v_add_co_u32_e32 v0, vcc, s10, v0
	v_addc_co_u32_e32 v1, vcc, v5, v1, vcc
	s_waitcnt vmcnt(0)
	global_store_dwordx2 v[0:1], v[2:3], off
	v_mov_b32_e32 v1, s15
	v_add_co_u32_e32 v0, vcc, s14, v4
	v_addc_co_u32_e32 v1, vcc, 0, v1, vcc
	s_or_b64 s[4:5], s[4:5], exec
.LBB19_9:
	s_branch .LBB19_24
.LBB19_10:
	s_min_u32 s12, s21, s16
	s_add_i32 s6, s12, s17
	s_min_u32 s13, s6, s16
	s_min_u32 s6, s22, s12
	s_add_i32 s22, s22, s12
	v_subrev_u32_e32 v0, s22, v4
	v_add_u32_e32 v4, s6, v0
	s_and_b64 vcc, exec, s[18:19]
	s_cbranch_vccz .LBB19_18
; %bb.11:
                                        ; implicit-def: $vgpr0_vgpr1
	s_and_saveexec_b64 s[6:7], s[2:3]
	s_cbranch_execz .LBB19_17
; %bb.12:
	s_cmp_ge_u32 s21, s13
	v_mov_b32_e32 v5, s12
	s_cbranch_scc1 .LBB19_16
; %bb.13:
	s_mov_b64 s[2:3], 0
	v_mov_b32_e32 v7, s13
	v_mov_b32_e32 v5, s12
	;; [unrolled: 1-line block ×4, first 2 shown]
.LBB19_14:                              ; =>This Inner Loop Header: Depth=1
	v_add_u32_e32 v0, v5, v7
	v_lshrrev_b32_e32 v0, 1, v0
	v_lshlrev_b64 v[10:11], 3, v[0:1]
	v_add_co_u32_e32 v10, vcc, s8, v10
	v_addc_co_u32_e32 v11, vcc, v8, v11, vcc
	global_load_dwordx2 v[10:11], v[10:11], off
	v_add_u32_e32 v9, 1, v0
	s_waitcnt vmcnt(0)
	v_cmp_gt_i64_e32 vcc, v[2:3], v[10:11]
	v_cndmask_b32_e64 v12, 0, 1, vcc
	v_cmp_le_i64_e32 vcc, v[10:11], v[2:3]
	v_cndmask_b32_e64 v10, 0, 1, vcc
	v_cndmask_b32_e64 v10, v10, v12, s[0:1]
	v_and_b32_e32 v10, 1, v10
	v_cmp_eq_u32_e32 vcc, 1, v10
	v_cndmask_b32_e32 v7, v0, v7, vcc
	v_cndmask_b32_e32 v5, v5, v9, vcc
	v_cmp_ge_u32_e32 vcc, v5, v7
	s_or_b64 s[2:3], vcc, s[2:3]
	s_andn2_b64 exec, exec, s[2:3]
	s_cbranch_execnz .LBB19_14
; %bb.15:
	s_or_b64 exec, exec, s[2:3]
.LBB19_16:
	v_add_u32_e32 v0, v5, v4
	v_mov_b32_e32 v1, 0
	v_lshlrev_b64 v[8:9], 3, v[0:1]
	v_mov_b32_e32 v1, s11
	v_add_co_u32_e32 v8, vcc, s10, v8
	v_addc_co_u32_e32 v9, vcc, v1, v9, vcc
	v_mov_b32_e32 v1, s15
	v_add_co_u32_e32 v0, vcc, s14, v0
	s_waitcnt vmcnt(0)
	global_store_dwordx2 v[8:9], v[2:3], off
	v_addc_co_u32_e32 v1, vcc, 0, v1, vcc
	s_or_b64 s[4:5], s[4:5], exec
.LBB19_17:
	s_or_b64 exec, exec, s[6:7]
	s_branch .LBB19_24
.LBB19_18:
                                        ; implicit-def: $vgpr0_vgpr1
	s_cbranch_execz .LBB19_24
; %bb.19:
	s_cmp_ge_u32 s21, s13
	v_mov_b32_e32 v5, s12
	s_cbranch_scc1 .LBB19_23
; %bb.20:
	s_mov_b64 s[2:3], 0
	v_mov_b32_e32 v7, s13
	v_mov_b32_e32 v5, s12
	;; [unrolled: 1-line block ×4, first 2 shown]
.LBB19_21:                              ; =>This Inner Loop Header: Depth=1
	v_add_u32_e32 v0, v5, v7
	v_lshrrev_b32_e32 v0, 1, v0
	v_lshlrev_b64 v[10:11], 3, v[0:1]
	v_add_co_u32_e32 v10, vcc, s8, v10
	v_addc_co_u32_e32 v11, vcc, v8, v11, vcc
	global_load_dwordx2 v[10:11], v[10:11], off
	v_add_u32_e32 v9, 1, v0
	s_waitcnt vmcnt(0)
	v_cmp_gt_i64_e32 vcc, v[2:3], v[10:11]
	v_cndmask_b32_e64 v12, 0, 1, vcc
	v_cmp_le_i64_e32 vcc, v[10:11], v[2:3]
	v_cndmask_b32_e64 v10, 0, 1, vcc
	v_cndmask_b32_e64 v10, v10, v12, s[0:1]
	v_and_b32_e32 v10, 1, v10
	v_cmp_eq_u32_e32 vcc, 1, v10
	v_cndmask_b32_e32 v7, v0, v7, vcc
	v_cndmask_b32_e32 v5, v5, v9, vcc
	v_cmp_ge_u32_e32 vcc, v5, v7
	s_or_b64 s[2:3], vcc, s[2:3]
	s_andn2_b64 exec, exec, s[2:3]
	s_cbranch_execnz .LBB19_21
; %bb.22:
	s_or_b64 exec, exec, s[2:3]
.LBB19_23:
	v_add_u32_e32 v0, v5, v4
	v_mov_b32_e32 v1, 0
	v_lshlrev_b64 v[4:5], 3, v[0:1]
	v_mov_b32_e32 v1, s11
	v_add_co_u32_e32 v4, vcc, s10, v4
	v_addc_co_u32_e32 v5, vcc, v1, v5, vcc
	v_mov_b32_e32 v1, s15
	v_add_co_u32_e32 v0, vcc, s14, v0
	v_addc_co_u32_e32 v1, vcc, 0, v1, vcc
	s_mov_b64 s[4:5], -1
	s_waitcnt vmcnt(0)
	global_store_dwordx2 v[4:5], v[2:3], off
.LBB19_24:
	s_and_b64 exec, exec, s[4:5]
	s_cbranch_execz .LBB19_26
; %bb.25:
	s_waitcnt vmcnt(1)
	global_store_byte v[0:1], v6, off
.LBB19_26:
	s_endpgm
	.section	.rodata,"a",@progbits
	.p2align	6, 0x0
	.amdhsa_kernel _ZN7rocprim17ROCPRIM_304000_NS6detail33device_block_merge_oddeven_kernelINS1_37wrapped_merge_sort_block_merge_configINS0_14default_configElN2at4cuda3cub6detail10OpaqueTypeILi1EEEEEPlSC_PSA_SD_jNS1_19radix_merge_compareILb0ELb0ElNS0_19identity_decomposerEEEEEvT0_T1_T2_T3_T4_SL_T5_
		.amdhsa_group_segment_fixed_size 0
		.amdhsa_private_segment_fixed_size 0
		.amdhsa_kernarg_size 44
		.amdhsa_user_sgpr_count 6
		.amdhsa_user_sgpr_private_segment_buffer 1
		.amdhsa_user_sgpr_dispatch_ptr 0
		.amdhsa_user_sgpr_queue_ptr 0
		.amdhsa_user_sgpr_kernarg_segment_ptr 1
		.amdhsa_user_sgpr_dispatch_id 0
		.amdhsa_user_sgpr_flat_scratch_init 0
		.amdhsa_user_sgpr_kernarg_preload_length 0
		.amdhsa_user_sgpr_kernarg_preload_offset 0
		.amdhsa_user_sgpr_private_segment_size 0
		.amdhsa_uses_dynamic_stack 0
		.amdhsa_system_sgpr_private_segment_wavefront_offset 0
		.amdhsa_system_sgpr_workgroup_id_x 1
		.amdhsa_system_sgpr_workgroup_id_y 0
		.amdhsa_system_sgpr_workgroup_id_z 0
		.amdhsa_system_sgpr_workgroup_info 0
		.amdhsa_system_vgpr_workitem_id 0
		.amdhsa_next_free_vgpr 13
		.amdhsa_next_free_sgpr 23
		.amdhsa_accum_offset 16
		.amdhsa_reserve_vcc 1
		.amdhsa_reserve_flat_scratch 0
		.amdhsa_float_round_mode_32 0
		.amdhsa_float_round_mode_16_64 0
		.amdhsa_float_denorm_mode_32 3
		.amdhsa_float_denorm_mode_16_64 3
		.amdhsa_dx10_clamp 1
		.amdhsa_ieee_mode 1
		.amdhsa_fp16_overflow 0
		.amdhsa_tg_split 0
		.amdhsa_exception_fp_ieee_invalid_op 0
		.amdhsa_exception_fp_denorm_src 0
		.amdhsa_exception_fp_ieee_div_zero 0
		.amdhsa_exception_fp_ieee_overflow 0
		.amdhsa_exception_fp_ieee_underflow 0
		.amdhsa_exception_fp_ieee_inexact 0
		.amdhsa_exception_int_div_zero 0
	.end_amdhsa_kernel
	.section	.text._ZN7rocprim17ROCPRIM_304000_NS6detail33device_block_merge_oddeven_kernelINS1_37wrapped_merge_sort_block_merge_configINS0_14default_configElN2at4cuda3cub6detail10OpaqueTypeILi1EEEEEPlSC_PSA_SD_jNS1_19radix_merge_compareILb0ELb0ElNS0_19identity_decomposerEEEEEvT0_T1_T2_T3_T4_SL_T5_,"axG",@progbits,_ZN7rocprim17ROCPRIM_304000_NS6detail33device_block_merge_oddeven_kernelINS1_37wrapped_merge_sort_block_merge_configINS0_14default_configElN2at4cuda3cub6detail10OpaqueTypeILi1EEEEEPlSC_PSA_SD_jNS1_19radix_merge_compareILb0ELb0ElNS0_19identity_decomposerEEEEEvT0_T1_T2_T3_T4_SL_T5_,comdat
.Lfunc_end19:
	.size	_ZN7rocprim17ROCPRIM_304000_NS6detail33device_block_merge_oddeven_kernelINS1_37wrapped_merge_sort_block_merge_configINS0_14default_configElN2at4cuda3cub6detail10OpaqueTypeILi1EEEEEPlSC_PSA_SD_jNS1_19radix_merge_compareILb0ELb0ElNS0_19identity_decomposerEEEEEvT0_T1_T2_T3_T4_SL_T5_, .Lfunc_end19-_ZN7rocprim17ROCPRIM_304000_NS6detail33device_block_merge_oddeven_kernelINS1_37wrapped_merge_sort_block_merge_configINS0_14default_configElN2at4cuda3cub6detail10OpaqueTypeILi1EEEEEPlSC_PSA_SD_jNS1_19radix_merge_compareILb0ELb0ElNS0_19identity_decomposerEEEEEvT0_T1_T2_T3_T4_SL_T5_
                                        ; -- End function
	.section	.AMDGPU.csdata,"",@progbits
; Kernel info:
; codeLenInByte = 816
; NumSgprs: 27
; NumVgprs: 13
; NumAgprs: 0
; TotalNumVgprs: 13
; ScratchSize: 0
; MemoryBound: 0
; FloatMode: 240
; IeeeMode: 1
; LDSByteSize: 0 bytes/workgroup (compile time only)
; SGPRBlocks: 3
; VGPRBlocks: 1
; NumSGPRsForWavesPerEU: 27
; NumVGPRsForWavesPerEU: 13
; AccumOffset: 16
; Occupancy: 8
; WaveLimiterHint : 0
; COMPUTE_PGM_RSRC2:SCRATCH_EN: 0
; COMPUTE_PGM_RSRC2:USER_SGPR: 6
; COMPUTE_PGM_RSRC2:TRAP_HANDLER: 0
; COMPUTE_PGM_RSRC2:TGID_X_EN: 1
; COMPUTE_PGM_RSRC2:TGID_Y_EN: 0
; COMPUTE_PGM_RSRC2:TGID_Z_EN: 0
; COMPUTE_PGM_RSRC2:TIDIG_COMP_CNT: 0
; COMPUTE_PGM_RSRC3_GFX90A:ACCUM_OFFSET: 3
; COMPUTE_PGM_RSRC3_GFX90A:TG_SPLIT: 0
	.section	.text._ZN7rocprim17ROCPRIM_304000_NS6detail45device_block_merge_mergepath_partition_kernelINS1_37wrapped_merge_sort_block_merge_configINS0_14default_configElN2at4cuda3cub6detail10OpaqueTypeILi1EEEEEPljNS1_19radix_merge_compareILb0ELb1ElNS0_19identity_decomposerEEEEEvT0_T1_jPSH_T2_SH_,"axG",@progbits,_ZN7rocprim17ROCPRIM_304000_NS6detail45device_block_merge_mergepath_partition_kernelINS1_37wrapped_merge_sort_block_merge_configINS0_14default_configElN2at4cuda3cub6detail10OpaqueTypeILi1EEEEEPljNS1_19radix_merge_compareILb0ELb1ElNS0_19identity_decomposerEEEEEvT0_T1_jPSH_T2_SH_,comdat
	.protected	_ZN7rocprim17ROCPRIM_304000_NS6detail45device_block_merge_mergepath_partition_kernelINS1_37wrapped_merge_sort_block_merge_configINS0_14default_configElN2at4cuda3cub6detail10OpaqueTypeILi1EEEEEPljNS1_19radix_merge_compareILb0ELb1ElNS0_19identity_decomposerEEEEEvT0_T1_jPSH_T2_SH_ ; -- Begin function _ZN7rocprim17ROCPRIM_304000_NS6detail45device_block_merge_mergepath_partition_kernelINS1_37wrapped_merge_sort_block_merge_configINS0_14default_configElN2at4cuda3cub6detail10OpaqueTypeILi1EEEEEPljNS1_19radix_merge_compareILb0ELb1ElNS0_19identity_decomposerEEEEEvT0_T1_jPSH_T2_SH_
	.globl	_ZN7rocprim17ROCPRIM_304000_NS6detail45device_block_merge_mergepath_partition_kernelINS1_37wrapped_merge_sort_block_merge_configINS0_14default_configElN2at4cuda3cub6detail10OpaqueTypeILi1EEEEEPljNS1_19radix_merge_compareILb0ELb1ElNS0_19identity_decomposerEEEEEvT0_T1_jPSH_T2_SH_
	.p2align	8
	.type	_ZN7rocprim17ROCPRIM_304000_NS6detail45device_block_merge_mergepath_partition_kernelINS1_37wrapped_merge_sort_block_merge_configINS0_14default_configElN2at4cuda3cub6detail10OpaqueTypeILi1EEEEEPljNS1_19radix_merge_compareILb0ELb1ElNS0_19identity_decomposerEEEEEvT0_T1_jPSH_T2_SH_,@function
_ZN7rocprim17ROCPRIM_304000_NS6detail45device_block_merge_mergepath_partition_kernelINS1_37wrapped_merge_sort_block_merge_configINS0_14default_configElN2at4cuda3cub6detail10OpaqueTypeILi1EEEEEPljNS1_19radix_merge_compareILb0ELb1ElNS0_19identity_decomposerEEEEEvT0_T1_jPSH_T2_SH_: ; @_ZN7rocprim17ROCPRIM_304000_NS6detail45device_block_merge_mergepath_partition_kernelINS1_37wrapped_merge_sort_block_merge_configINS0_14default_configElN2at4cuda3cub6detail10OpaqueTypeILi1EEEEEPljNS1_19radix_merge_compareILb0ELb1ElNS0_19identity_decomposerEEEEEvT0_T1_jPSH_T2_SH_
; %bb.0:
	s_load_dwordx2 s[8:9], s[4:5], 0x8
	v_lshl_or_b32 v0, s6, 7, v0
	s_waitcnt lgkmcnt(0)
	v_cmp_gt_u32_e32 vcc, s9, v0
	s_and_saveexec_b64 s[0:1], vcc
	s_cbranch_execz .LBB20_6
; %bb.1:
	s_load_dword s6, s[4:5], 0x20
	s_load_dwordx4 s[0:3], s[4:5], 0x10
	s_waitcnt lgkmcnt(0)
	s_lshr_b32 s7, s6, 9
	s_and_b32 s7, s7, 0x7ffffe
	s_add_i32 s9, s7, -1
	s_sub_i32 s7, 0, s7
	v_and_b32_e32 v1, s7, v0
	v_lshlrev_b32_e32 v1, 10, v1
	v_min_u32_e32 v2, s8, v1
	v_add_u32_e32 v1, s6, v1
	v_min_u32_e32 v4, s8, v1
	v_add_u32_e32 v1, s6, v4
	v_and_b32_e32 v3, s9, v0
	v_min_u32_e32 v1, s8, v1
	v_sub_u32_e32 v5, v1, v2
	v_lshlrev_b32_e32 v3, 10, v3
	v_min_u32_e32 v6, v5, v3
	v_sub_u32_e32 v3, v4, v2
	v_sub_u32_e32 v1, v1, v4
	v_sub_u32_e64 v1, v6, v1 clamp
	v_min_u32_e32 v7, v6, v3
	v_cmp_lt_u32_e32 vcc, v1, v7
	s_and_saveexec_b64 s[6:7], vcc
	s_cbranch_execz .LBB20_5
; %bb.2:
	s_load_dwordx2 s[4:5], s[4:5], 0x0
	v_mov_b32_e32 v5, 0
	v_mov_b32_e32 v3, v5
	v_lshlrev_b64 v[8:9], 3, v[2:3]
	v_lshlrev_b64 v[10:11], 3, v[4:5]
	s_waitcnt lgkmcnt(0)
	v_mov_b32_e32 v12, s5
	v_add_co_u32_e32 v3, vcc, s4, v8
	v_addc_co_u32_e32 v8, vcc, v12, v9, vcc
	v_add_co_u32_e32 v9, vcc, s4, v10
	v_addc_co_u32_e32 v10, vcc, v12, v11, vcc
	s_mov_b64 s[4:5], 0
.LBB20_3:                               ; =>This Inner Loop Header: Depth=1
	v_add_u32_e32 v4, v7, v1
	v_lshrrev_b32_e32 v4, 1, v4
	v_lshlrev_b64 v[14:15], 3, v[4:5]
	v_mov_b32_e32 v13, v5
	v_xad_u32 v12, v4, -1, v6
	v_add_co_u32_e32 v14, vcc, v3, v14
	v_addc_co_u32_e32 v15, vcc, v8, v15, vcc
	v_lshlrev_b64 v[12:13], 3, v[12:13]
	v_add_co_u32_e32 v12, vcc, v9, v12
	v_addc_co_u32_e32 v13, vcc, v10, v13, vcc
	global_load_dwordx2 v[14:15], v[14:15], off
	v_add_u32_e32 v11, 1, v4
	global_load_dwordx2 v[12:13], v[12:13], off
	s_waitcnt vmcnt(1)
	v_and_b32_e32 v15, s3, v15
	v_and_b32_e32 v14, s2, v14
	s_waitcnt vmcnt(0)
	v_and_b32_e32 v13, s3, v13
	v_and_b32_e32 v12, s2, v12
	v_cmp_gt_i64_e32 vcc, v[14:15], v[12:13]
	v_cndmask_b32_e32 v7, v7, v4, vcc
	v_cndmask_b32_e32 v1, v11, v1, vcc
	v_cmp_ge_u32_e32 vcc, v1, v7
	s_or_b64 s[4:5], vcc, s[4:5]
	s_andn2_b64 exec, exec, s[4:5]
	s_cbranch_execnz .LBB20_3
; %bb.4:
	s_or_b64 exec, exec, s[4:5]
.LBB20_5:
	s_or_b64 exec, exec, s[6:7]
	v_add_u32_e32 v2, v1, v2
	v_mov_b32_e32 v1, 0
	v_lshlrev_b64 v[0:1], 2, v[0:1]
	v_mov_b32_e32 v3, s1
	v_add_co_u32_e32 v0, vcc, s0, v0
	v_addc_co_u32_e32 v1, vcc, v3, v1, vcc
	global_store_dword v[0:1], v2, off
.LBB20_6:
	s_endpgm
	.section	.rodata,"a",@progbits
	.p2align	6, 0x0
	.amdhsa_kernel _ZN7rocprim17ROCPRIM_304000_NS6detail45device_block_merge_mergepath_partition_kernelINS1_37wrapped_merge_sort_block_merge_configINS0_14default_configElN2at4cuda3cub6detail10OpaqueTypeILi1EEEEEPljNS1_19radix_merge_compareILb0ELb1ElNS0_19identity_decomposerEEEEEvT0_T1_jPSH_T2_SH_
		.amdhsa_group_segment_fixed_size 0
		.amdhsa_private_segment_fixed_size 0
		.amdhsa_kernarg_size 36
		.amdhsa_user_sgpr_count 6
		.amdhsa_user_sgpr_private_segment_buffer 1
		.amdhsa_user_sgpr_dispatch_ptr 0
		.amdhsa_user_sgpr_queue_ptr 0
		.amdhsa_user_sgpr_kernarg_segment_ptr 1
		.amdhsa_user_sgpr_dispatch_id 0
		.amdhsa_user_sgpr_flat_scratch_init 0
		.amdhsa_user_sgpr_kernarg_preload_length 0
		.amdhsa_user_sgpr_kernarg_preload_offset 0
		.amdhsa_user_sgpr_private_segment_size 0
		.amdhsa_uses_dynamic_stack 0
		.amdhsa_system_sgpr_private_segment_wavefront_offset 0
		.amdhsa_system_sgpr_workgroup_id_x 1
		.amdhsa_system_sgpr_workgroup_id_y 0
		.amdhsa_system_sgpr_workgroup_id_z 0
		.amdhsa_system_sgpr_workgroup_info 0
		.amdhsa_system_vgpr_workitem_id 0
		.amdhsa_next_free_vgpr 16
		.amdhsa_next_free_sgpr 10
		.amdhsa_accum_offset 16
		.amdhsa_reserve_vcc 1
		.amdhsa_reserve_flat_scratch 0
		.amdhsa_float_round_mode_32 0
		.amdhsa_float_round_mode_16_64 0
		.amdhsa_float_denorm_mode_32 3
		.amdhsa_float_denorm_mode_16_64 3
		.amdhsa_dx10_clamp 1
		.amdhsa_ieee_mode 1
		.amdhsa_fp16_overflow 0
		.amdhsa_tg_split 0
		.amdhsa_exception_fp_ieee_invalid_op 0
		.amdhsa_exception_fp_denorm_src 0
		.amdhsa_exception_fp_ieee_div_zero 0
		.amdhsa_exception_fp_ieee_overflow 0
		.amdhsa_exception_fp_ieee_underflow 0
		.amdhsa_exception_fp_ieee_inexact 0
		.amdhsa_exception_int_div_zero 0
	.end_amdhsa_kernel
	.section	.text._ZN7rocprim17ROCPRIM_304000_NS6detail45device_block_merge_mergepath_partition_kernelINS1_37wrapped_merge_sort_block_merge_configINS0_14default_configElN2at4cuda3cub6detail10OpaqueTypeILi1EEEEEPljNS1_19radix_merge_compareILb0ELb1ElNS0_19identity_decomposerEEEEEvT0_T1_jPSH_T2_SH_,"axG",@progbits,_ZN7rocprim17ROCPRIM_304000_NS6detail45device_block_merge_mergepath_partition_kernelINS1_37wrapped_merge_sort_block_merge_configINS0_14default_configElN2at4cuda3cub6detail10OpaqueTypeILi1EEEEEPljNS1_19radix_merge_compareILb0ELb1ElNS0_19identity_decomposerEEEEEvT0_T1_jPSH_T2_SH_,comdat
.Lfunc_end20:
	.size	_ZN7rocprim17ROCPRIM_304000_NS6detail45device_block_merge_mergepath_partition_kernelINS1_37wrapped_merge_sort_block_merge_configINS0_14default_configElN2at4cuda3cub6detail10OpaqueTypeILi1EEEEEPljNS1_19radix_merge_compareILb0ELb1ElNS0_19identity_decomposerEEEEEvT0_T1_jPSH_T2_SH_, .Lfunc_end20-_ZN7rocprim17ROCPRIM_304000_NS6detail45device_block_merge_mergepath_partition_kernelINS1_37wrapped_merge_sort_block_merge_configINS0_14default_configElN2at4cuda3cub6detail10OpaqueTypeILi1EEEEEPljNS1_19radix_merge_compareILb0ELb1ElNS0_19identity_decomposerEEEEEvT0_T1_jPSH_T2_SH_
                                        ; -- End function
	.section	.AMDGPU.csdata,"",@progbits
; Kernel info:
; codeLenInByte = 380
; NumSgprs: 14
; NumVgprs: 16
; NumAgprs: 0
; TotalNumVgprs: 16
; ScratchSize: 0
; MemoryBound: 0
; FloatMode: 240
; IeeeMode: 1
; LDSByteSize: 0 bytes/workgroup (compile time only)
; SGPRBlocks: 1
; VGPRBlocks: 1
; NumSGPRsForWavesPerEU: 14
; NumVGPRsForWavesPerEU: 16
; AccumOffset: 16
; Occupancy: 8
; WaveLimiterHint : 0
; COMPUTE_PGM_RSRC2:SCRATCH_EN: 0
; COMPUTE_PGM_RSRC2:USER_SGPR: 6
; COMPUTE_PGM_RSRC2:TRAP_HANDLER: 0
; COMPUTE_PGM_RSRC2:TGID_X_EN: 1
; COMPUTE_PGM_RSRC2:TGID_Y_EN: 0
; COMPUTE_PGM_RSRC2:TGID_Z_EN: 0
; COMPUTE_PGM_RSRC2:TIDIG_COMP_CNT: 0
; COMPUTE_PGM_RSRC3_GFX90A:ACCUM_OFFSET: 3
; COMPUTE_PGM_RSRC3_GFX90A:TG_SPLIT: 0
	.section	.text._ZN7rocprim17ROCPRIM_304000_NS6detail35device_block_merge_mergepath_kernelINS1_37wrapped_merge_sort_block_merge_configINS0_14default_configElN2at4cuda3cub6detail10OpaqueTypeILi1EEEEEPlSC_PSA_SD_jNS1_19radix_merge_compareILb0ELb1ElNS0_19identity_decomposerEEEEEvT0_T1_T2_T3_T4_SL_jT5_PKSL_NS1_7vsmem_tE,"axG",@progbits,_ZN7rocprim17ROCPRIM_304000_NS6detail35device_block_merge_mergepath_kernelINS1_37wrapped_merge_sort_block_merge_configINS0_14default_configElN2at4cuda3cub6detail10OpaqueTypeILi1EEEEEPlSC_PSA_SD_jNS1_19radix_merge_compareILb0ELb1ElNS0_19identity_decomposerEEEEEvT0_T1_T2_T3_T4_SL_jT5_PKSL_NS1_7vsmem_tE,comdat
	.protected	_ZN7rocprim17ROCPRIM_304000_NS6detail35device_block_merge_mergepath_kernelINS1_37wrapped_merge_sort_block_merge_configINS0_14default_configElN2at4cuda3cub6detail10OpaqueTypeILi1EEEEEPlSC_PSA_SD_jNS1_19radix_merge_compareILb0ELb1ElNS0_19identity_decomposerEEEEEvT0_T1_T2_T3_T4_SL_jT5_PKSL_NS1_7vsmem_tE ; -- Begin function _ZN7rocprim17ROCPRIM_304000_NS6detail35device_block_merge_mergepath_kernelINS1_37wrapped_merge_sort_block_merge_configINS0_14default_configElN2at4cuda3cub6detail10OpaqueTypeILi1EEEEEPlSC_PSA_SD_jNS1_19radix_merge_compareILb0ELb1ElNS0_19identity_decomposerEEEEEvT0_T1_T2_T3_T4_SL_jT5_PKSL_NS1_7vsmem_tE
	.globl	_ZN7rocprim17ROCPRIM_304000_NS6detail35device_block_merge_mergepath_kernelINS1_37wrapped_merge_sort_block_merge_configINS0_14default_configElN2at4cuda3cub6detail10OpaqueTypeILi1EEEEEPlSC_PSA_SD_jNS1_19radix_merge_compareILb0ELb1ElNS0_19identity_decomposerEEEEEvT0_T1_T2_T3_T4_SL_jT5_PKSL_NS1_7vsmem_tE
	.p2align	8
	.type	_ZN7rocprim17ROCPRIM_304000_NS6detail35device_block_merge_mergepath_kernelINS1_37wrapped_merge_sort_block_merge_configINS0_14default_configElN2at4cuda3cub6detail10OpaqueTypeILi1EEEEEPlSC_PSA_SD_jNS1_19radix_merge_compareILb0ELb1ElNS0_19identity_decomposerEEEEEvT0_T1_T2_T3_T4_SL_jT5_PKSL_NS1_7vsmem_tE,@function
_ZN7rocprim17ROCPRIM_304000_NS6detail35device_block_merge_mergepath_kernelINS1_37wrapped_merge_sort_block_merge_configINS0_14default_configElN2at4cuda3cub6detail10OpaqueTypeILi1EEEEEPlSC_PSA_SD_jNS1_19radix_merge_compareILb0ELb1ElNS0_19identity_decomposerEEEEEvT0_T1_T2_T3_T4_SL_jT5_PKSL_NS1_7vsmem_tE: ; @_ZN7rocprim17ROCPRIM_304000_NS6detail35device_block_merge_mergepath_kernelINS1_37wrapped_merge_sort_block_merge_configINS0_14default_configElN2at4cuda3cub6detail10OpaqueTypeILi1EEEEEPlSC_PSA_SD_jNS1_19radix_merge_compareILb0ELb1ElNS0_19identity_decomposerEEEEEvT0_T1_T2_T3_T4_SL_jT5_PKSL_NS1_7vsmem_tE
; %bb.0:
	s_load_dwordx2 s[28:29], s[4:5], 0x48
	s_load_dwordx4 s[16:19], s[4:5], 0x20
	s_add_u32 s2, s4, 0x48
	s_addc_u32 s3, s5, 0
	s_waitcnt lgkmcnt(0)
	s_mul_i32 s0, s29, s8
	s_add_i32 s0, s0, s7
	s_mul_i32 s0, s0, s28
	s_add_i32 s0, s0, s6
	s_cmp_ge_u32 s0, s18
	s_cbranch_scc1 .LBB21_69
; %bb.1:
	s_load_dwordx8 s[8:15], s[4:5], 0x0
	s_load_dwordx4 s[20:23], s[4:5], 0x30
	s_lshr_b32 s31, s16, 10
	s_cmp_lg_u32 s0, s31
	s_mov_b32 s1, 0
	s_cselect_b64 s[24:25], -1, 0
	s_lshl_b64 s[4:5], s[0:1], 2
	s_waitcnt lgkmcnt(0)
	s_add_u32 s4, s22, s4
	s_addc_u32 s5, s23, s5
	s_load_dwordx2 s[22:23], s[4:5], 0x0
	s_lshr_b32 s4, s17, 9
	s_and_b32 s4, s4, 0x7ffffe
	s_sub_i32 s4, 0, s4
	s_and_b32 s5, s0, s4
	s_lshl_b32 s7, s5, 10
	s_lshl_b32 s18, s0, 10
	;; [unrolled: 1-line block ×3, first 2 shown]
	s_sub_i32 s19, s18, s7
	s_add_i32 s5, s5, s17
	s_add_i32 s19, s5, s19
	s_waitcnt lgkmcnt(0)
	s_sub_i32 s26, s19, s22
	s_sub_i32 s19, s19, s23
	;; [unrolled: 1-line block ×3, first 2 shown]
	s_min_u32 s26, s16, s26
	s_addk_i32 s19, 0x400
	s_or_b32 s4, s0, s4
	s_min_u32 s7, s16, s5
	s_add_i32 s5, s5, s17
	s_cmp_eq_u32 s4, -1
	s_cselect_b32 s4, s5, s19
	s_cselect_b32 s5, s7, s23
	s_min_u32 s4, s4, s16
	s_mov_b32 s23, s1
	s_sub_i32 s19, s5, s22
	s_sub_i32 s29, s4, s26
	s_lshl_b64 s[4:5], s[22:23], 3
	s_add_u32 s7, s8, s4
	s_mov_b32 s27, s1
	s_addc_u32 s30, s9, s5
	s_lshl_b64 s[4:5], s[26:27], 3
	s_add_u32 s4, s8, s4
	s_addc_u32 s5, s9, s5
	s_cmp_lt_u32 s6, s28
	v_mov_b32_e32 v9, 0
	s_cselect_b32 s1, 12, 18
	global_load_dword v1, v9, s[2:3] offset:14
	s_add_u32 s2, s2, s1
	s_addc_u32 s3, s3, 0
	global_load_ushort v2, v9, s[2:3]
	v_cmp_gt_u32_e32 vcc, s19, v0
	s_cmp_eq_u32 s0, s31
	s_waitcnt vmcnt(1)
	v_lshrrev_b32_e32 v3, 16, v1
	v_and_b32_e32 v1, 0xffff, v1
	v_mul_lo_u32 v1, v1, v3
	s_waitcnt vmcnt(0)
	v_mul_lo_u32 v14, v1, v2
	v_add_u32_e32 v12, v14, v0
	v_lshlrev_b32_e32 v1, 3, v0
	v_add_u32_e32 v10, v12, v14
	s_cbranch_scc1 .LBB21_3
; %bb.2:
	v_mov_b32_e32 v2, s30
	v_add_co_u32_e64 v4, s[0:1], s7, v1
	v_subrev_u32_e32 v8, s19, v0
	v_addc_co_u32_e64 v5, s[0:1], 0, v2, s[0:1]
	v_lshlrev_b64 v[2:3], 3, v[8:9]
	v_mov_b32_e32 v6, s5
	v_add_co_u32_e64 v2, s[0:1], s4, v2
	v_addc_co_u32_e64 v3, s[0:1], v6, v3, s[0:1]
	v_mov_b32_e32 v13, v9
	v_cndmask_b32_e32 v3, v3, v5, vcc
	v_cndmask_b32_e32 v2, v2, v4, vcc
	v_lshlrev_b64 v[4:5], 3, v[12:13]
	v_mov_b32_e32 v6, s30
	v_add_co_u32_e32 v7, vcc, s7, v4
	v_subrev_u32_e32 v8, s19, v12
	v_addc_co_u32_e32 v6, vcc, v6, v5, vcc
	v_lshlrev_b64 v[4:5], 3, v[8:9]
	v_mov_b32_e32 v8, s5
	v_add_co_u32_e32 v4, vcc, s4, v4
	v_addc_co_u32_e32 v5, vcc, v8, v5, vcc
	v_cmp_gt_u32_e32 vcc, s19, v12
	v_mov_b32_e32 v11, v9
	v_cndmask_b32_e32 v5, v5, v6, vcc
	v_cndmask_b32_e32 v4, v4, v7, vcc
	v_lshlrev_b64 v[6:7], 3, v[10:11]
	v_mov_b32_e32 v8, s30
	v_add_co_u32_e32 v11, vcc, s7, v6
	v_addc_co_u32_e32 v13, vcc, v8, v7, vcc
	v_subrev_u32_e32 v8, s19, v10
	v_lshlrev_b64 v[6:7], 3, v[8:9]
	v_mov_b32_e32 v8, s5
	v_add_co_u32_e32 v6, vcc, s4, v6
	v_addc_co_u32_e32 v7, vcc, v8, v7, vcc
	v_add_u32_e32 v8, v10, v14
	v_cmp_gt_u32_e32 vcc, s19, v10
	v_lshlrev_b64 v[16:17], 3, v[8:9]
	v_cndmask_b32_e32 v7, v7, v13, vcc
	v_cndmask_b32_e32 v6, v6, v11, vcc
	v_mov_b32_e32 v11, s30
	v_add_co_u32_e32 v13, vcc, s7, v16
	v_addc_co_u32_e32 v11, vcc, v11, v17, vcc
	v_cmp_gt_u32_e32 vcc, s19, v8
	v_subrev_u32_e32 v8, s19, v8
	v_lshlrev_b64 v[8:9], 3, v[8:9]
	v_mov_b32_e32 v15, s5
	v_add_co_u32_e64 v8, s[0:1], s4, v8
	v_addc_co_u32_e64 v9, s[0:1], v15, v9, s[0:1]
	v_cndmask_b32_e32 v9, v9, v11, vcc
	v_cndmask_b32_e32 v8, v8, v13, vcc
	global_load_dwordx2 v[2:3], v[2:3], off
	s_add_i32 s17, s29, s19
	global_load_dwordx2 v[4:5], v[4:5], off
	s_nop 0
	global_load_dwordx2 v[6:7], v[6:7], off
	s_nop 0
	global_load_dwordx2 v[8:9], v[8:9], off
	s_cbranch_execz .LBB21_4
	s_branch .LBB21_11
.LBB21_3:
                                        ; implicit-def: $vgpr2_vgpr3_vgpr4_vgpr5_vgpr6_vgpr7_vgpr8_vgpr9
                                        ; implicit-def: $sgpr17
.LBB21_4:
	s_add_i32 s17, s29, s19
	v_cmp_gt_u32_e32 vcc, s17, v0
                                        ; implicit-def: $vgpr2_vgpr3_vgpr4_vgpr5_vgpr6_vgpr7_vgpr8_vgpr9
	s_and_saveexec_b64 s[0:1], vcc
	s_cbranch_execnz .LBB21_70
; %bb.5:
	s_or_b64 exec, exec, s[0:1]
	v_cmp_gt_u32_e32 vcc, s17, v12
	s_and_saveexec_b64 s[2:3], vcc
	s_cbranch_execnz .LBB21_71
.LBB21_6:
	s_or_b64 exec, exec, s[2:3]
	v_cmp_gt_u32_e32 vcc, s17, v10
	s_and_saveexec_b64 s[0:1], vcc
	s_cbranch_execz .LBB21_8
.LBB21_7:
	v_mov_b32_e32 v11, 0
	s_waitcnt vmcnt(1)
	v_lshlrev_b64 v[6:7], 3, v[10:11]
	v_mov_b32_e32 v12, s30
	v_add_co_u32_e32 v13, vcc, s7, v6
	v_addc_co_u32_e32 v12, vcc, v12, v7, vcc
	v_subrev_u32_e32 v6, s19, v10
	v_mov_b32_e32 v7, v11
	v_lshlrev_b64 v[6:7], 3, v[6:7]
	v_mov_b32_e32 v11, s5
	v_add_co_u32_e32 v6, vcc, s4, v6
	v_addc_co_u32_e32 v7, vcc, v11, v7, vcc
	v_cmp_gt_u32_e32 vcc, s19, v10
	v_cndmask_b32_e32 v7, v7, v12, vcc
	v_cndmask_b32_e32 v6, v6, v13, vcc
	global_load_dwordx2 v[6:7], v[6:7], off
.LBB21_8:
	s_or_b64 exec, exec, s[0:1]
	v_add_u32_e32 v10, v10, v14
	v_cmp_gt_u32_e32 vcc, s17, v10
	s_and_saveexec_b64 s[2:3], vcc
	s_cbranch_execz .LBB21_10
; %bb.9:
	v_mov_b32_e32 v11, 0
	s_waitcnt vmcnt(0)
	v_lshlrev_b64 v[8:9], 3, v[10:11]
	v_mov_b32_e32 v12, s30
	v_add_co_u32_e32 v13, vcc, s7, v8
	v_addc_co_u32_e32 v12, vcc, v12, v9, vcc
	v_cmp_gt_u32_e32 vcc, s19, v10
	v_subrev_u32_e32 v10, s19, v10
	v_lshlrev_b64 v[8:9], 3, v[10:11]
	v_mov_b32_e32 v10, s5
	v_add_co_u32_e64 v8, s[0:1], s4, v8
	v_addc_co_u32_e64 v9, s[0:1], v10, v9, s[0:1]
	v_cndmask_b32_e32 v9, v9, v12, vcc
	v_cndmask_b32_e32 v8, v8, v13, vcc
	global_load_dwordx2 v[8:9], v[8:9], off
.LBB21_10:
	s_or_b64 exec, exec, s[2:3]
.LBB21_11:
	v_lshlrev_b32_e32 v14, 2, v0
	v_min_u32_e32 v11, s17, v14
	v_sub_u32_e64 v10, v11, s29 clamp
	v_min_u32_e32 v12, s19, v11
	v_cmp_lt_u32_e32 vcc, v10, v12
	s_waitcnt vmcnt(0)
	ds_write2st64_b64 v1, v[2:3], v[4:5] offset1:4
	ds_write2st64_b64 v1, v[6:7], v[8:9] offset0:8 offset1:12
	s_waitcnt lgkmcnt(0)
	s_barrier
	s_and_saveexec_b64 s[0:1], vcc
	s_cbranch_execz .LBB21_15
; %bb.12:
	v_lshlrev_b32_e32 v13, 3, v11
	v_lshl_add_u32 v13, s19, 3, v13
	s_mov_b64 s[2:3], 0
.LBB21_13:                              ; =>This Inner Loop Header: Depth=1
	v_add_u32_e32 v15, v12, v10
	v_lshrrev_b32_e32 v15, 1, v15
	v_not_b32_e32 v18, v15
	v_lshlrev_b32_e32 v16, 3, v15
	v_lshl_add_u32 v18, v18, 3, v13
	ds_read_b64 v[16:17], v16
	ds_read_b64 v[18:19], v18
	v_add_u32_e32 v20, 1, v15
	s_waitcnt lgkmcnt(1)
	v_and_b32_e32 v17, s21, v17
	v_and_b32_e32 v16, s20, v16
	s_waitcnt lgkmcnt(0)
	v_and_b32_e32 v19, s21, v19
	v_and_b32_e32 v18, s20, v18
	v_cmp_gt_i64_e32 vcc, v[16:17], v[18:19]
	v_cndmask_b32_e32 v12, v12, v15, vcc
	v_cndmask_b32_e32 v10, v20, v10, vcc
	v_cmp_ge_u32_e32 vcc, v10, v12
	s_or_b64 s[2:3], vcc, s[2:3]
	s_andn2_b64 exec, exec, s[2:3]
	s_cbranch_execnz .LBB21_13
; %bb.14:
	s_or_b64 exec, exec, s[2:3]
.LBB21_15:
	s_or_b64 exec, exec, s[0:1]
	v_sub_u32_e32 v11, v11, v10
	v_add_u32_e32 v11, s19, v11
	v_cmp_ge_u32_e32 vcc, s19, v10
	v_cmp_ge_u32_e64 s[0:1], s17, v11
	s_or_b64 s[0:1], vcc, s[0:1]
                                        ; implicit-def: $vgpr17
                                        ; implicit-def: $vgpr18
                                        ; implicit-def: $vgpr16
                                        ; implicit-def: $vgpr15
	s_and_saveexec_b64 s[6:7], s[0:1]
	s_cbranch_execz .LBB21_21
; %bb.16:
	v_cmp_gt_u32_e32 vcc, s19, v10
                                        ; implicit-def: $vgpr2_vgpr3
	s_and_saveexec_b64 s[0:1], vcc
	s_cbranch_execz .LBB21_18
; %bb.17:
	v_lshlrev_b32_e32 v2, 3, v10
	ds_read_b64 v[2:3], v2
.LBB21_18:
	s_or_b64 exec, exec, s[0:1]
	v_cmp_le_u32_e64 s[0:1], s17, v11
	v_cmp_gt_u32_e64 s[2:3], s17, v11
                                        ; implicit-def: $vgpr4_vgpr5
	s_and_saveexec_b64 s[4:5], s[2:3]
	s_cbranch_execz .LBB21_20
; %bb.19:
	v_lshlrev_b32_e32 v4, 3, v11
	ds_read_b64 v[4:5], v4
.LBB21_20:
	s_or_b64 exec, exec, s[4:5]
	s_waitcnt lgkmcnt(0)
	v_and_b32_e32 v7, s21, v5
	v_and_b32_e32 v6, s20, v4
	;; [unrolled: 1-line block ×4, first 2 shown]
	v_cmp_le_i64_e64 s[2:3], v[8:9], v[6:7]
	s_and_b64 s[2:3], vcc, s[2:3]
	s_or_b64 vcc, s[0:1], s[2:3]
	v_mov_b32_e32 v12, s17
	v_mov_b32_e32 v13, s19
	v_cndmask_b32_e32 v15, v11, v10, vcc
	v_cndmask_b32_e32 v6, v12, v13, vcc
	v_add_u32_e32 v8, 1, v15
	v_add_u32_e32 v6, -1, v6
	v_min_u32_e32 v6, v8, v6
	v_lshlrev_b32_e32 v6, 3, v6
	ds_read_b64 v[6:7], v6
	v_cndmask_b32_e32 v11, v8, v11, vcc
	v_cndmask_b32_e32 v10, v10, v8, vcc
	v_cmp_gt_u32_e64 s[2:3], s19, v10
	v_cmp_le_u32_e64 s[0:1], s17, v11
	s_waitcnt lgkmcnt(0)
	v_cndmask_b32_e32 v17, v7, v5, vcc
	v_cndmask_b32_e32 v19, v6, v4, vcc
	;; [unrolled: 1-line block ×4, first 2 shown]
	v_and_b32_e32 v7, s21, v17
	v_and_b32_e32 v6, s20, v19
	v_and_b32_e32 v9, s21, v20
	v_and_b32_e32 v8, s20, v21
	v_cmp_le_i64_e64 s[4:5], v[8:9], v[6:7]
	s_and_b64 s[2:3], s[2:3], s[4:5]
	s_or_b64 s[0:1], s[0:1], s[2:3]
	v_cndmask_b32_e64 v16, v11, v10, s[0:1]
	v_cndmask_b32_e64 v6, v12, v13, s[0:1]
	v_add_u32_e32 v8, 1, v16
	v_add_u32_e32 v6, -1, v6
	v_min_u32_e32 v6, v8, v6
	v_lshlrev_b32_e32 v6, 3, v6
	ds_read_b64 v[6:7], v6
	v_cndmask_b32_e32 v3, v5, v3, vcc
	v_cndmask_b32_e32 v2, v4, v2, vcc
	v_cndmask_b32_e64 v10, v10, v8, s[0:1]
	v_cndmask_b32_e64 v11, v8, v11, s[0:1]
	s_waitcnt lgkmcnt(0)
	v_cndmask_b32_e64 v22, v7, v17, s[0:1]
	v_cndmask_b32_e64 v23, v6, v19, s[0:1]
	;; [unrolled: 1-line block ×4, first 2 shown]
	v_and_b32_e32 v5, s21, v22
	v_and_b32_e32 v4, s20, v23
	;; [unrolled: 1-line block ×4, first 2 shown]
	v_cmp_gt_u32_e64 s[2:3], s19, v10
	v_cmp_le_i64_e64 s[4:5], v[6:7], v[4:5]
	v_cmp_le_u32_e32 vcc, s17, v11
	s_and_b64 s[2:3], s[2:3], s[4:5]
	s_or_b64 vcc, vcc, s[2:3]
	v_cndmask_b32_e32 v18, v11, v10, vcc
	v_cndmask_b32_e32 v4, v12, v13, vcc
	v_add_u32_e32 v12, 1, v18
	v_add_u32_e32 v4, -1, v4
	v_min_u32_e32 v4, v12, v4
	v_lshlrev_b32_e32 v4, 3, v4
	ds_read_b64 v[8:9], v4
	v_cndmask_b32_e64 v5, v17, v20, s[0:1]
	v_cndmask_b32_e64 v4, v19, v21, s[0:1]
	v_cndmask_b32_e32 v17, v12, v11, vcc
	v_cndmask_b32_e32 v12, v10, v12, vcc
	s_waitcnt lgkmcnt(0)
	v_cndmask_b32_e32 v13, v9, v22, vcc
	v_cndmask_b32_e32 v19, v8, v23, vcc
	;; [unrolled: 1-line block ×4, first 2 shown]
	v_and_b32_e32 v9, s21, v13
	v_and_b32_e32 v8, s20, v19
	v_and_b32_e32 v11, s21, v20
	v_and_b32_e32 v10, s20, v21
	v_cmp_gt_u32_e64 s[0:1], s19, v12
	v_cmp_le_i64_e64 s[2:3], v[10:11], v[8:9]
	v_cndmask_b32_e32 v7, v22, v24, vcc
	v_cndmask_b32_e32 v6, v23, v25, vcc
	v_cmp_le_u32_e32 vcc, s17, v17
	s_and_b64 s[0:1], s[0:1], s[2:3]
	s_or_b64 vcc, vcc, s[0:1]
	v_cndmask_b32_e32 v17, v17, v12, vcc
	v_cndmask_b32_e32 v9, v13, v20, vcc
	;; [unrolled: 1-line block ×3, first 2 shown]
.LBB21_21:
	s_or_b64 exec, exec, s[6:7]
	s_add_u32 s20, s12, s22
	s_addc_u32 s21, s13, 0
	s_add_u32 s28, s12, s26
	v_cndmask_b32_e64 v10, 0, 1, s[24:25]
	s_addc_u32 s30, s13, 0
	v_cmp_gt_u32_e64 s[4:5], s19, v0
	v_cmp_ne_u32_e64 s[0:1], 1, v10
	s_andn2_b64 vcc, exec, s[24:25]
	v_cmp_le_u32_e64 s[2:3], s19, v0
	s_barrier
	s_cbranch_vccnz .LBB21_23
; %bb.22:
	v_subrev_u32_e32 v10, s19, v0
	v_mov_b32_e32 v11, s30
	v_add_co_u32_e32 v10, vcc, s28, v10
	v_addc_co_u32_e32 v11, vcc, 0, v11, vcc
	v_mov_b32_e32 v12, s21
	v_add_co_u32_e32 v13, vcc, s20, v0
	v_addc_co_u32_e32 v19, vcc, 0, v12, vcc
	v_cndmask_b32_e64 v11, v11, v19, s[4:5]
	v_cndmask_b32_e64 v10, v10, v13, s[4:5]
	s_movk_i32 s4, 0x100
	global_load_ubyte v20, v[10:11], off
	v_or_b32_e32 v10, 0x100, v0
	v_add_co_u32_e32 v12, vcc, s4, v13
	v_addc_co_u32_e32 v11, vcc, 0, v19, vcc
	v_subrev_u32_e32 v21, s19, v10
	v_mov_b32_e32 v22, s30
	v_add_co_u32_e32 v21, vcc, s28, v21
	v_addc_co_u32_e32 v22, vcc, 0, v22, vcc
	v_cmp_gt_u32_e32 vcc, s19, v10
	v_cndmask_b32_e32 v11, v22, v11, vcc
	v_cndmask_b32_e32 v10, v21, v12, vcc
	s_movk_i32 s4, 0x200
	global_load_ubyte v21, v[10:11], off
	v_or_b32_e32 v10, 0x200, v0
	v_add_co_u32_e32 v12, vcc, s4, v13
	v_addc_co_u32_e32 v11, vcc, 0, v19, vcc
	v_subrev_u32_e32 v22, s19, v10
	v_mov_b32_e32 v23, s30
	v_add_co_u32_e32 v22, vcc, s28, v22
	v_addc_co_u32_e32 v23, vcc, 0, v23, vcc
	v_cmp_gt_u32_e32 vcc, s19, v10
	v_cndmask_b32_e32 v11, v23, v11, vcc
	v_cndmask_b32_e32 v10, v22, v12, vcc
	global_load_ubyte v22, v[10:11], off
	v_or_b32_e32 v12, 0x300, v0
	v_subrev_u32_e32 v11, s19, v12
	v_mov_b32_e32 v10, s30
	v_add_co_u32_e32 v23, vcc, s28, v11
	s_movk_i32 s4, 0x300
	v_addc_co_u32_e32 v10, vcc, 0, v10, vcc
	v_add_co_u32_e32 v13, vcc, s4, v13
	v_addc_co_u32_e32 v11, vcc, 0, v19, vcc
	v_cmp_gt_u32_e32 vcc, s19, v12
	v_cndmask_b32_e32 v11, v10, v11, vcc
	v_cndmask_b32_e32 v10, v23, v13, vcc
	s_mov_b64 s[4:5], -1
	s_waitcnt vmcnt(2)
	ds_write_b8 v0, v20
	s_waitcnt vmcnt(1)
	ds_write_b8 v0, v21 offset:256
	s_waitcnt vmcnt(0)
	ds_write_b8 v0, v22 offset:512
	s_cbranch_execz .LBB21_24
	s_branch .LBB21_43
.LBB21_23:
	s_mov_b64 s[4:5], 0
                                        ; implicit-def: $vgpr12
                                        ; implicit-def: $vgpr10_vgpr11
.LBB21_24:
	s_mov_b64 s[6:7], 0
                                        ; implicit-def: $vgpr10_vgpr11
	s_and_saveexec_b64 s[8:9], s[2:3]
	s_xor_b64 s[2:3], exec, s[8:9]
	s_cbranch_execnz .LBB21_72
; %bb.25:
	s_andn2_saveexec_b64 s[2:3], s[2:3]
	s_cbranch_execnz .LBB21_75
.LBB21_26:
	s_or_b64 exec, exec, s[2:3]
	s_and_saveexec_b64 s[2:3], s[6:7]
	s_cbranch_execz .LBB21_28
.LBB21_27:
	global_load_ubyte v10, v[10:11], off
	s_waitcnt vmcnt(0)
	ds_write_b8 v0, v10
.LBB21_28:
	s_or_b64 exec, exec, s[2:3]
	v_or_b32_e32 v12, 0x100, v0
	v_cmp_le_u32_e32 vcc, s19, v12
	s_mov_b64 s[2:3], -1
	v_pk_mov_b32 v[10:11], s[22:23], s[22:23] op_sel:[0,1]
	s_and_saveexec_b64 s[6:7], vcc
; %bb.29:
	v_subrev_u32_e32 v12, s19, v12
	v_cmp_gt_u32_e32 vcc, s29, v12
	v_pk_mov_b32 v[10:11], s[26:27], s[26:27] op_sel:[0,1]
	s_orn2_b64 s[2:3], vcc, exec
; %bb.30:
	s_or_b64 exec, exec, s[6:7]
	s_and_saveexec_b64 s[6:7], s[2:3]
	s_cbranch_execz .LBB21_32
; %bb.31:
	v_mov_b32_e32 v13, s13
	v_add_co_u32_e32 v10, vcc, s12, v10
	v_addc_co_u32_e32 v11, vcc, v13, v11, vcc
	v_add_co_u32_e32 v10, vcc, v10, v12
	v_addc_co_u32_e32 v11, vcc, 0, v11, vcc
	global_load_ubyte v10, v[10:11], off
	s_waitcnt vmcnt(0)
	ds_write_b8 v0, v10 offset:256
.LBB21_32:
	s_or_b64 exec, exec, s[6:7]
	v_or_b32_e32 v12, 0x200, v0
	v_cmp_le_u32_e32 vcc, s19, v12
	s_mov_b64 s[2:3], -1
	v_pk_mov_b32 v[10:11], s[22:23], s[22:23] op_sel:[0,1]
	s_and_saveexec_b64 s[6:7], vcc
; %bb.33:
	v_subrev_u32_e32 v12, s19, v12
	v_cmp_gt_u32_e32 vcc, s29, v12
	v_pk_mov_b32 v[10:11], s[26:27], s[26:27] op_sel:[0,1]
	s_orn2_b64 s[2:3], vcc, exec
; %bb.34:
	s_or_b64 exec, exec, s[6:7]
	s_and_saveexec_b64 s[6:7], s[2:3]
	s_cbranch_execz .LBB21_36
; %bb.35:
	v_mov_b32_e32 v13, s13
	v_add_co_u32_e32 v10, vcc, s12, v10
	v_addc_co_u32_e32 v11, vcc, v13, v11, vcc
	v_add_co_u32_e32 v10, vcc, v10, v12
	v_addc_co_u32_e32 v11, vcc, 0, v11, vcc
	global_load_ubyte v10, v[10:11], off
	s_waitcnt vmcnt(0)
	ds_write_b8 v0, v10 offset:512
.LBB21_36:
	s_or_b64 exec, exec, s[6:7]
	v_or_b32_e32 v13, 0x300, v0
	v_cmp_le_u32_e32 vcc, s19, v13
                                        ; implicit-def: $vgpr12
                                        ; implicit-def: $vgpr10_vgpr11
	s_and_saveexec_b64 s[2:3], vcc
	s_xor_b64 s[2:3], exec, s[2:3]
	s_cbranch_execz .LBB21_40
; %bb.37:
	v_subrev_u32_e32 v13, s19, v13
	v_cmp_gt_u32_e32 vcc, s29, v13
	s_mov_b64 s[8:9], s[4:5]
                                        ; implicit-def: $vgpr12
                                        ; implicit-def: $vgpr10_vgpr11
	s_and_saveexec_b64 s[6:7], vcc
; %bb.38:
	v_mov_b32_e32 v11, s30
	v_add_co_u32_e32 v10, vcc, s28, v13
	v_or_b32_e32 v12, 0x300, v0
	v_addc_co_u32_e32 v11, vcc, 0, v11, vcc
	s_or_b64 s[8:9], s[4:5], exec
; %bb.39:
	s_or_b64 exec, exec, s[6:7]
	s_andn2_b64 s[4:5], s[4:5], exec
	s_and_b64 s[6:7], s[8:9], exec
	s_or_b64 s[4:5], s[4:5], s[6:7]
.LBB21_40:
	s_andn2_saveexec_b64 s[2:3], s[2:3]
; %bb.41:
	v_mov_b32_e32 v10, s21
	v_add_co_u32_e32 v11, vcc, s20, v0
	v_addc_co_u32_e32 v12, vcc, 0, v10, vcc
	v_add_co_u32_e32 v10, vcc, 0x300, v11
	v_addc_co_u32_e32 v11, vcc, 0, v12, vcc
	v_or_b32_e32 v12, 0x300, v0
	s_or_b64 s[4:5], s[4:5], exec
; %bb.42:
	s_or_b64 exec, exec, s[2:3]
.LBB21_43:
	s_and_saveexec_b64 s[2:3], s[4:5]
	s_cbranch_execz .LBB21_45
; %bb.44:
	global_load_ubyte v10, v[10:11], off
	s_waitcnt vmcnt(0)
	ds_write_b8 v12, v10
.LBB21_45:
	s_or_b64 exec, exec, s[2:3]
	s_and_b64 vcc, exec, s[0:1]
	v_add_u32_e32 v10, s18, v14
	s_waitcnt lgkmcnt(0)
	s_barrier
	s_cbranch_vccnz .LBB21_47
; %bb.46:
	ds_read_u8 v11, v16
	ds_read_u8 v12, v18
	;; [unrolled: 1-line block ×3, first 2 shown]
	v_mov_b32_e32 v13, 0
	s_waitcnt lgkmcnt(2)
	v_lshlrev_b16_e32 v11, 8, v11
	s_mov_b64 s[0:1], -1
	s_waitcnt lgkmcnt(0)
	v_or_b32_e32 v11, v19, v11
	global_store_byte v10, v12, s[14:15] offset:2
	global_store_short v10, v11, s[14:15]
	s_cbranch_execz .LBB21_48
	s_branch .LBB21_57
.LBB21_47:
	s_mov_b64 s[0:1], 0
                                        ; implicit-def: $vgpr12_vgpr13
.LBB21_48:
	v_cmp_gt_u32_e32 vcc, s17, v14
	s_and_saveexec_b64 s[2:3], vcc
	s_cbranch_execz .LBB21_50
; %bb.49:
	ds_read_u8 v11, v15
	s_waitcnt lgkmcnt(0)
	global_store_byte v10, v11, s[14:15]
.LBB21_50:
	s_or_b64 exec, exec, s[2:3]
	v_or_b32_e32 v11, 1, v14
	v_cmp_gt_u32_e32 vcc, s17, v11
	s_and_saveexec_b64 s[2:3], vcc
	s_cbranch_execz .LBB21_52
; %bb.51:
	ds_read_u8 v11, v16
	s_waitcnt lgkmcnt(0)
	global_store_byte v10, v11, s[14:15] offset:1
.LBB21_52:
	s_or_b64 exec, exec, s[2:3]
	v_or_b32_e32 v11, 2, v14
	v_cmp_gt_u32_e32 vcc, s17, v11
	s_and_saveexec_b64 s[2:3], vcc
	s_cbranch_execz .LBB21_54
; %bb.53:
	ds_read_u8 v11, v18
	s_waitcnt lgkmcnt(0)
	global_store_byte v10, v11, s[14:15] offset:2
.LBB21_54:
	s_or_b64 exec, exec, s[2:3]
	v_or_b32_e32 v11, 3, v14
	v_cmp_gt_u32_e32 vcc, s17, v11
	s_and_saveexec_b64 s[2:3], vcc
                                        ; implicit-def: $vgpr12_vgpr13
; %bb.55:
	v_mov_b32_e32 v13, 0
	s_or_b64 s[0:1], s[0:1], exec
; %bb.56:
	s_or_b64 exec, exec, s[2:3]
.LBB21_57:
	s_and_saveexec_b64 s[2:3], s[0:1]
	s_cbranch_execz .LBB21_59
; %bb.58:
	ds_read_u8 v12, v17
	v_mov_b32_e32 v11, s15
	v_add_co_u32_e32 v10, vcc, s14, v10
	v_addc_co_u32_e32 v11, vcc, v11, v13, vcc
	s_waitcnt lgkmcnt(0)
	global_store_byte v[10:11], v12, off offset:3
.LBB21_59:
	s_or_b64 exec, exec, s[2:3]
	v_and_b32_e32 v10, 0xf8, v0
	v_lshl_add_u32 v10, v14, 3, v10
	s_barrier
	s_barrier
	ds_write2_b64 v10, v[2:3], v[4:5] offset1:1
	ds_write2_b64 v10, v[6:7], v[8:9] offset0:2 offset1:3
	v_lshrrev_b32_e32 v2, 2, v0
	v_and_b32_e32 v2, 56, v2
	v_or_b32_e32 v12, 0x100, v0
	v_add_u32_e32 v13, v1, v2
	v_lshrrev_b32_e32 v2, 2, v12
	v_and_b32_e32 v2, 0x78, v2
	v_or_b32_e32 v11, 0x200, v0
	s_mov_b32 s19, 0
	v_add_u32_e32 v6, v1, v2
	v_lshrrev_b32_e32 v2, 2, v11
	s_lshl_b64 s[0:1], s[18:19], 3
	v_and_b32_e32 v2, 0xb8, v2
	v_or_b32_e32 v10, 0x300, v0
	s_add_u32 s0, s10, s0
	v_add_u32_e32 v7, v1, v2
	v_lshrrev_b32_e32 v2, 2, v10
	s_addc_u32 s1, s11, s1
	v_and_b32_e32 v2, 0xf8, v2
	v_add_u32_e32 v14, v1, v2
	v_mov_b32_e32 v3, s1
	v_add_co_u32_e32 v2, vcc, s0, v1
	v_addc_co_u32_e32 v3, vcc, 0, v3, vcc
	s_and_b64 vcc, exec, s[24:25]
	s_waitcnt lgkmcnt(0)
	s_cbranch_vccz .LBB21_61
; %bb.60:
	s_barrier
	ds_read_b64 v[8:9], v13
	ds_read_b64 v[16:17], v6 offset:2048
	ds_read_b64 v[18:19], v7 offset:4096
	;; [unrolled: 1-line block ×3, first 2 shown]
	s_waitcnt lgkmcnt(3)
	global_store_dwordx2 v[2:3], v[8:9], off
	s_waitcnt lgkmcnt(2)
	global_store_dwordx2 v[2:3], v[16:17], off offset:2048
	v_add_co_u32_e32 v8, vcc, 0x1000, v2
	v_addc_co_u32_e32 v9, vcc, 0, v3, vcc
	s_waitcnt lgkmcnt(1)
	global_store_dwordx2 v[8:9], v[18:19], off
	s_mov_b64 s[0:1], -1
	s_cbranch_execz .LBB21_62
	s_branch .LBB21_67
.LBB21_61:
	s_mov_b64 s[0:1], 0
                                        ; implicit-def: $vgpr4_vgpr5
.LBB21_62:
	s_barrier
	s_waitcnt lgkmcnt(0)
	ds_read_b64 v[8:9], v6 offset:2048
	ds_read_b64 v[6:7], v7 offset:4096
	;; [unrolled: 1-line block ×3, first 2 shown]
	s_sub_i32 s2, s16, s18
	v_cmp_gt_u32_e32 vcc, s2, v0
	s_and_saveexec_b64 s[0:1], vcc
	s_cbranch_execnz .LBB21_76
; %bb.63:
	s_or_b64 exec, exec, s[0:1]
	v_cmp_gt_u32_e32 vcc, s2, v12
	s_and_saveexec_b64 s[0:1], vcc
	s_cbranch_execnz .LBB21_77
.LBB21_64:
	s_or_b64 exec, exec, s[0:1]
	v_cmp_gt_u32_e32 vcc, s2, v11
	s_and_saveexec_b64 s[0:1], vcc
	s_cbranch_execz .LBB21_66
.LBB21_65:
	v_add_co_u32_e32 v0, vcc, 0x1000, v2
	v_addc_co_u32_e32 v1, vcc, 0, v3, vcc
	s_waitcnt lgkmcnt(1)
	global_store_dwordx2 v[0:1], v[6:7], off
.LBB21_66:
	s_or_b64 exec, exec, s[0:1]
	v_cmp_gt_u32_e64 s[0:1], s2, v10
.LBB21_67:
	s_and_saveexec_b64 s[2:3], s[0:1]
	s_cbranch_execz .LBB21_69
; %bb.68:
	v_add_co_u32_e32 v0, vcc, 0x1000, v2
	v_addc_co_u32_e32 v1, vcc, 0, v3, vcc
	s_waitcnt lgkmcnt(0)
	global_store_dwordx2 v[0:1], v[4:5], off offset:2048
.LBB21_69:
	s_endpgm
.LBB21_70:
	s_waitcnt vmcnt(3)
	v_mov_b32_e32 v2, s30
	s_waitcnt vmcnt(2)
	v_add_co_u32_e32 v4, vcc, s7, v1
	v_mov_b32_e32 v3, 0
	v_addc_co_u32_e32 v5, vcc, 0, v2, vcc
	v_subrev_u32_e32 v2, s19, v0
	v_lshlrev_b64 v[2:3], 3, v[2:3]
	s_waitcnt vmcnt(1)
	v_mov_b32_e32 v6, s5
	v_add_co_u32_e32 v2, vcc, s4, v2
	v_addc_co_u32_e32 v3, vcc, v6, v3, vcc
	v_cmp_gt_u32_e32 vcc, s19, v0
	v_cndmask_b32_e32 v3, v3, v5, vcc
	v_cndmask_b32_e32 v2, v2, v4, vcc
	global_load_dwordx2 v[2:3], v[2:3], off
	s_or_b64 exec, exec, s[0:1]
	v_cmp_gt_u32_e32 vcc, s17, v12
	s_and_saveexec_b64 s[2:3], vcc
	s_cbranch_execz .LBB21_6
.LBB21_71:
	v_mov_b32_e32 v13, 0
	s_waitcnt vmcnt(2)
	v_lshlrev_b64 v[4:5], 3, v[12:13]
	v_mov_b32_e32 v11, s30
	v_add_co_u32_e32 v15, vcc, s7, v4
	v_addc_co_u32_e32 v11, vcc, v11, v5, vcc
	v_cmp_gt_u32_e32 vcc, s19, v12
	v_subrev_u32_e32 v12, s19, v12
	v_lshlrev_b64 v[4:5], 3, v[12:13]
	v_mov_b32_e32 v12, s5
	v_add_co_u32_e64 v4, s[0:1], s4, v4
	v_addc_co_u32_e64 v5, s[0:1], v12, v5, s[0:1]
	v_cndmask_b32_e32 v5, v5, v11, vcc
	v_cndmask_b32_e32 v4, v4, v15, vcc
	global_load_dwordx2 v[4:5], v[4:5], off
	s_or_b64 exec, exec, s[2:3]
	v_cmp_gt_u32_e32 vcc, s17, v10
	s_and_saveexec_b64 s[0:1], vcc
	s_cbranch_execnz .LBB21_7
	s_branch .LBB21_8
.LBB21_72:
	v_subrev_u32_e32 v12, s19, v0
	v_cmp_gt_u32_e32 vcc, s29, v12
                                        ; implicit-def: $vgpr10_vgpr11
	s_and_saveexec_b64 s[8:9], vcc
	s_xor_b64 s[8:9], exec, s[8:9]
; %bb.73:
	v_mov_b32_e32 v11, s30
	v_add_co_u32_e32 v10, vcc, s28, v12
	s_mov_b64 s[6:7], exec
	v_addc_co_u32_e32 v11, vcc, 0, v11, vcc
; %bb.74:
	s_or_b64 exec, exec, s[8:9]
	s_and_b64 s[6:7], s[6:7], exec
	s_andn2_saveexec_b64 s[2:3], s[2:3]
	s_cbranch_execz .LBB21_26
.LBB21_75:
	v_mov_b32_e32 v11, s21
	v_add_co_u32_e32 v10, vcc, s20, v0
	v_addc_co_u32_e32 v11, vcc, 0, v11, vcc
	s_or_b64 s[6:7], s[6:7], exec
	s_or_b64 exec, exec, s[2:3]
	s_and_saveexec_b64 s[2:3], s[6:7]
	s_cbranch_execnz .LBB21_27
	s_branch .LBB21_28
.LBB21_76:
	ds_read_b64 v[0:1], v13
	s_waitcnt lgkmcnt(0)
	global_store_dwordx2 v[2:3], v[0:1], off
	s_or_b64 exec, exec, s[0:1]
	v_cmp_gt_u32_e32 vcc, s2, v12
	s_and_saveexec_b64 s[0:1], vcc
	s_cbranch_execz .LBB21_64
.LBB21_77:
	s_waitcnt lgkmcnt(2)
	global_store_dwordx2 v[2:3], v[8:9], off offset:2048
	s_or_b64 exec, exec, s[0:1]
	v_cmp_gt_u32_e32 vcc, s2, v11
	s_and_saveexec_b64 s[0:1], vcc
	s_cbranch_execnz .LBB21_65
	s_branch .LBB21_66
	.section	.rodata,"a",@progbits
	.p2align	6, 0x0
	.amdhsa_kernel _ZN7rocprim17ROCPRIM_304000_NS6detail35device_block_merge_mergepath_kernelINS1_37wrapped_merge_sort_block_merge_configINS0_14default_configElN2at4cuda3cub6detail10OpaqueTypeILi1EEEEEPlSC_PSA_SD_jNS1_19radix_merge_compareILb0ELb1ElNS0_19identity_decomposerEEEEEvT0_T1_T2_T3_T4_SL_jT5_PKSL_NS1_7vsmem_tE
		.amdhsa_group_segment_fixed_size 8448
		.amdhsa_private_segment_fixed_size 0
		.amdhsa_kernarg_size 328
		.amdhsa_user_sgpr_count 6
		.amdhsa_user_sgpr_private_segment_buffer 1
		.amdhsa_user_sgpr_dispatch_ptr 0
		.amdhsa_user_sgpr_queue_ptr 0
		.amdhsa_user_sgpr_kernarg_segment_ptr 1
		.amdhsa_user_sgpr_dispatch_id 0
		.amdhsa_user_sgpr_flat_scratch_init 0
		.amdhsa_user_sgpr_kernarg_preload_length 0
		.amdhsa_user_sgpr_kernarg_preload_offset 0
		.amdhsa_user_sgpr_private_segment_size 0
		.amdhsa_uses_dynamic_stack 0
		.amdhsa_system_sgpr_private_segment_wavefront_offset 0
		.amdhsa_system_sgpr_workgroup_id_x 1
		.amdhsa_system_sgpr_workgroup_id_y 1
		.amdhsa_system_sgpr_workgroup_id_z 1
		.amdhsa_system_sgpr_workgroup_info 0
		.amdhsa_system_vgpr_workitem_id 0
		.amdhsa_next_free_vgpr 26
		.amdhsa_next_free_sgpr 32
		.amdhsa_accum_offset 28
		.amdhsa_reserve_vcc 1
		.amdhsa_reserve_flat_scratch 0
		.amdhsa_float_round_mode_32 0
		.amdhsa_float_round_mode_16_64 0
		.amdhsa_float_denorm_mode_32 3
		.amdhsa_float_denorm_mode_16_64 3
		.amdhsa_dx10_clamp 1
		.amdhsa_ieee_mode 1
		.amdhsa_fp16_overflow 0
		.amdhsa_tg_split 0
		.amdhsa_exception_fp_ieee_invalid_op 0
		.amdhsa_exception_fp_denorm_src 0
		.amdhsa_exception_fp_ieee_div_zero 0
		.amdhsa_exception_fp_ieee_overflow 0
		.amdhsa_exception_fp_ieee_underflow 0
		.amdhsa_exception_fp_ieee_inexact 0
		.amdhsa_exception_int_div_zero 0
	.end_amdhsa_kernel
	.section	.text._ZN7rocprim17ROCPRIM_304000_NS6detail35device_block_merge_mergepath_kernelINS1_37wrapped_merge_sort_block_merge_configINS0_14default_configElN2at4cuda3cub6detail10OpaqueTypeILi1EEEEEPlSC_PSA_SD_jNS1_19radix_merge_compareILb0ELb1ElNS0_19identity_decomposerEEEEEvT0_T1_T2_T3_T4_SL_jT5_PKSL_NS1_7vsmem_tE,"axG",@progbits,_ZN7rocprim17ROCPRIM_304000_NS6detail35device_block_merge_mergepath_kernelINS1_37wrapped_merge_sort_block_merge_configINS0_14default_configElN2at4cuda3cub6detail10OpaqueTypeILi1EEEEEPlSC_PSA_SD_jNS1_19radix_merge_compareILb0ELb1ElNS0_19identity_decomposerEEEEEvT0_T1_T2_T3_T4_SL_jT5_PKSL_NS1_7vsmem_tE,comdat
.Lfunc_end21:
	.size	_ZN7rocprim17ROCPRIM_304000_NS6detail35device_block_merge_mergepath_kernelINS1_37wrapped_merge_sort_block_merge_configINS0_14default_configElN2at4cuda3cub6detail10OpaqueTypeILi1EEEEEPlSC_PSA_SD_jNS1_19radix_merge_compareILb0ELb1ElNS0_19identity_decomposerEEEEEvT0_T1_T2_T3_T4_SL_jT5_PKSL_NS1_7vsmem_tE, .Lfunc_end21-_ZN7rocprim17ROCPRIM_304000_NS6detail35device_block_merge_mergepath_kernelINS1_37wrapped_merge_sort_block_merge_configINS0_14default_configElN2at4cuda3cub6detail10OpaqueTypeILi1EEEEEPlSC_PSA_SD_jNS1_19radix_merge_compareILb0ELb1ElNS0_19identity_decomposerEEEEEvT0_T1_T2_T3_T4_SL_jT5_PKSL_NS1_7vsmem_tE
                                        ; -- End function
	.section	.AMDGPU.csdata,"",@progbits
; Kernel info:
; codeLenInByte = 3372
; NumSgprs: 36
; NumVgprs: 26
; NumAgprs: 0
; TotalNumVgprs: 26
; ScratchSize: 0
; MemoryBound: 0
; FloatMode: 240
; IeeeMode: 1
; LDSByteSize: 8448 bytes/workgroup (compile time only)
; SGPRBlocks: 4
; VGPRBlocks: 3
; NumSGPRsForWavesPerEU: 36
; NumVGPRsForWavesPerEU: 26
; AccumOffset: 28
; Occupancy: 7
; WaveLimiterHint : 1
; COMPUTE_PGM_RSRC2:SCRATCH_EN: 0
; COMPUTE_PGM_RSRC2:USER_SGPR: 6
; COMPUTE_PGM_RSRC2:TRAP_HANDLER: 0
; COMPUTE_PGM_RSRC2:TGID_X_EN: 1
; COMPUTE_PGM_RSRC2:TGID_Y_EN: 1
; COMPUTE_PGM_RSRC2:TGID_Z_EN: 1
; COMPUTE_PGM_RSRC2:TIDIG_COMP_CNT: 0
; COMPUTE_PGM_RSRC3_GFX90A:ACCUM_OFFSET: 6
; COMPUTE_PGM_RSRC3_GFX90A:TG_SPLIT: 0
	.section	.text._ZN7rocprim17ROCPRIM_304000_NS6detail33device_block_merge_oddeven_kernelINS1_37wrapped_merge_sort_block_merge_configINS0_14default_configElN2at4cuda3cub6detail10OpaqueTypeILi1EEEEEPlSC_PSA_SD_jNS1_19radix_merge_compareILb0ELb1ElNS0_19identity_decomposerEEEEEvT0_T1_T2_T3_T4_SL_T5_,"axG",@progbits,_ZN7rocprim17ROCPRIM_304000_NS6detail33device_block_merge_oddeven_kernelINS1_37wrapped_merge_sort_block_merge_configINS0_14default_configElN2at4cuda3cub6detail10OpaqueTypeILi1EEEEEPlSC_PSA_SD_jNS1_19radix_merge_compareILb0ELb1ElNS0_19identity_decomposerEEEEEvT0_T1_T2_T3_T4_SL_T5_,comdat
	.protected	_ZN7rocprim17ROCPRIM_304000_NS6detail33device_block_merge_oddeven_kernelINS1_37wrapped_merge_sort_block_merge_configINS0_14default_configElN2at4cuda3cub6detail10OpaqueTypeILi1EEEEEPlSC_PSA_SD_jNS1_19radix_merge_compareILb0ELb1ElNS0_19identity_decomposerEEEEEvT0_T1_T2_T3_T4_SL_T5_ ; -- Begin function _ZN7rocprim17ROCPRIM_304000_NS6detail33device_block_merge_oddeven_kernelINS1_37wrapped_merge_sort_block_merge_configINS0_14default_configElN2at4cuda3cub6detail10OpaqueTypeILi1EEEEEPlSC_PSA_SD_jNS1_19radix_merge_compareILb0ELb1ElNS0_19identity_decomposerEEEEEvT0_T1_T2_T3_T4_SL_T5_
	.globl	_ZN7rocprim17ROCPRIM_304000_NS6detail33device_block_merge_oddeven_kernelINS1_37wrapped_merge_sort_block_merge_configINS0_14default_configElN2at4cuda3cub6detail10OpaqueTypeILi1EEEEEPlSC_PSA_SD_jNS1_19radix_merge_compareILb0ELb1ElNS0_19identity_decomposerEEEEEvT0_T1_T2_T3_T4_SL_T5_
	.p2align	8
	.type	_ZN7rocprim17ROCPRIM_304000_NS6detail33device_block_merge_oddeven_kernelINS1_37wrapped_merge_sort_block_merge_configINS0_14default_configElN2at4cuda3cub6detail10OpaqueTypeILi1EEEEEPlSC_PSA_SD_jNS1_19radix_merge_compareILb0ELb1ElNS0_19identity_decomposerEEEEEvT0_T1_T2_T3_T4_SL_T5_,@function
_ZN7rocprim17ROCPRIM_304000_NS6detail33device_block_merge_oddeven_kernelINS1_37wrapped_merge_sort_block_merge_configINS0_14default_configElN2at4cuda3cub6detail10OpaqueTypeILi1EEEEEPlSC_PSA_SD_jNS1_19radix_merge_compareILb0ELb1ElNS0_19identity_decomposerEEEEEvT0_T1_T2_T3_T4_SL_T5_: ; @_ZN7rocprim17ROCPRIM_304000_NS6detail33device_block_merge_oddeven_kernelINS1_37wrapped_merge_sort_block_merge_configINS0_14default_configElN2at4cuda3cub6detail10OpaqueTypeILi1EEEEEPlSC_PSA_SD_jNS1_19radix_merge_compareILb0ELb1ElNS0_19identity_decomposerEEEEEvT0_T1_T2_T3_T4_SL_T5_
; %bb.0:
	s_load_dwordx2 s[18:19], s[4:5], 0x20
	s_waitcnt lgkmcnt(0)
	s_lshr_b32 s2, s18, 8
	s_cmp_lg_u32 s6, s2
	s_cselect_b64 s[0:1], -1, 0
	s_cmp_eq_u32 s6, s2
	s_cselect_b64 s[16:17], -1, 0
	s_lshl_b32 s20, s6, 8
	s_sub_i32 s2, s18, s20
	v_cmp_gt_u32_e64 s[2:3], s2, v0
	s_or_b64 s[0:1], s[0:1], s[2:3]
	s_and_saveexec_b64 s[8:9], s[0:1]
	s_cbranch_execz .LBB22_26
; %bb.1:
	s_load_dwordx8 s[8:15], s[4:5], 0x0
	s_mov_b32 s21, 0
	s_lshl_b64 s[0:1], s[20:21], 3
	v_lshlrev_b32_e32 v1, 3, v0
	v_add_u32_e32 v4, s20, v0
	s_waitcnt lgkmcnt(0)
	s_add_u32 s0, s8, s0
	s_addc_u32 s1, s9, s1
	s_add_u32 s12, s12, s20
	s_addc_u32 s13, s13, 0
	global_load_ubyte v6, v0, s[12:13]
	global_load_dwordx2 v[2:3], v1, s[0:1]
	s_lshr_b32 s0, s19, 8
	s_sub_i32 s1, 0, s0
	s_and_b32 s1, s6, s1
	s_and_b32 s0, s1, s0
	s_lshl_b32 s23, s1, 8
	s_sub_i32 s12, 0, s19
	s_cmp_eq_u32 s0, 0
	s_cselect_b64 s[0:1], -1, 0
	s_and_b64 s[6:7], s[0:1], exec
	s_cselect_b32 s22, s19, s12
	s_add_i32 s22, s22, s23
	s_cmp_lt_u32 s22, s18
	s_cbranch_scc1 .LBB22_6
; %bb.2:
	s_and_b64 vcc, exec, s[16:17]
	s_cbranch_vccz .LBB22_7
; %bb.3:
	v_cmp_gt_u32_e32 vcc, s18, v4
	s_mov_b64 s[12:13], 0
	s_mov_b64 s[6:7], 0
                                        ; implicit-def: $vgpr0_vgpr1
	s_and_saveexec_b64 s[20:21], vcc
	s_cbranch_execz .LBB22_5
; %bb.4:
	v_mov_b32_e32 v5, 0
	v_mov_b32_e32 v1, s15
	v_add_co_u32_e32 v0, vcc, s14, v4
	v_addc_co_u32_e32 v1, vcc, 0, v1, vcc
	v_lshlrev_b64 v[8:9], 3, v[4:5]
	v_mov_b32_e32 v5, s11
	v_add_co_u32_e32 v8, vcc, s10, v8
	s_mov_b64 s[6:7], exec
	v_addc_co_u32_e32 v9, vcc, v5, v9, vcc
	s_waitcnt vmcnt(0)
	global_store_dwordx2 v[8:9], v[2:3], off
.LBB22_5:
	s_or_b64 exec, exec, s[20:21]
	s_and_b64 vcc, exec, s[12:13]
	s_cbranch_vccnz .LBB22_8
	s_branch .LBB22_9
.LBB22_6:
	s_mov_b64 s[6:7], 0
                                        ; implicit-def: $vgpr0_vgpr1
	s_cbranch_execnz .LBB22_10
	s_branch .LBB22_24
.LBB22_7:
	s_mov_b64 s[6:7], 0
                                        ; implicit-def: $vgpr0_vgpr1
	s_cbranch_execz .LBB22_9
.LBB22_8:
	v_mov_b32_e32 v5, 0
	v_lshlrev_b64 v[0:1], 3, v[4:5]
	v_mov_b32_e32 v5, s11
	v_add_co_u32_e32 v0, vcc, s10, v0
	v_addc_co_u32_e32 v1, vcc, v5, v1, vcc
	s_waitcnt vmcnt(0)
	global_store_dwordx2 v[0:1], v[2:3], off
	v_mov_b32_e32 v1, s15
	v_add_co_u32_e32 v0, vcc, s14, v4
	v_addc_co_u32_e32 v1, vcc, 0, v1, vcc
	s_or_b64 s[6:7], s[6:7], exec
.LBB22_9:
	s_branch .LBB22_24
.LBB22_10:
	s_min_u32 s20, s22, s18
	s_load_dwordx2 s[4:5], s[4:5], 0x28
	s_add_i32 s12, s20, s19
	s_min_u32 s18, s12, s18
	s_min_u32 s12, s23, s20
	s_add_i32 s23, s23, s20
	v_subrev_u32_e32 v0, s23, v4
	v_add_u32_e32 v7, s12, v0
	s_and_b64 vcc, exec, s[16:17]
	s_cbranch_vccz .LBB22_18
; %bb.11:
                                        ; implicit-def: $vgpr0_vgpr1
	s_and_saveexec_b64 s[12:13], s[2:3]
	s_cbranch_execz .LBB22_17
; %bb.12:
	s_cmp_ge_u32 s22, s18
	v_mov_b32_e32 v8, s20
	s_cbranch_scc1 .LBB22_16
; %bb.13:
	s_waitcnt vmcnt(0) lgkmcnt(0)
	v_and_b32_e32 v1, s5, v3
	v_and_b32_e32 v0, s4, v2
	s_mov_b64 s[2:3], 0
	v_mov_b32_e32 v9, s18
	v_mov_b32_e32 v8, s20
	;; [unrolled: 1-line block ×4, first 2 shown]
.LBB22_14:                              ; =>This Inner Loop Header: Depth=1
	v_add_u32_e32 v4, v8, v9
	v_lshrrev_b32_e32 v4, 1, v4
	v_lshlrev_b64 v[12:13], 3, v[4:5]
	v_add_co_u32_e32 v12, vcc, s8, v12
	v_addc_co_u32_e32 v13, vcc, v10, v13, vcc
	global_load_dwordx2 v[12:13], v[12:13], off
	v_add_u32_e32 v11, 1, v4
	s_waitcnt vmcnt(0)
	v_and_b32_e32 v13, s5, v13
	v_and_b32_e32 v12, s4, v12
	v_cmp_gt_i64_e32 vcc, v[0:1], v[12:13]
	v_cndmask_b32_e64 v14, 0, 1, vcc
	v_cmp_le_i64_e32 vcc, v[12:13], v[0:1]
	v_cndmask_b32_e64 v12, 0, 1, vcc
	v_cndmask_b32_e64 v12, v12, v14, s[0:1]
	v_and_b32_e32 v12, 1, v12
	v_cmp_eq_u32_e32 vcc, 1, v12
	v_cndmask_b32_e32 v9, v4, v9, vcc
	v_cndmask_b32_e32 v8, v8, v11, vcc
	v_cmp_ge_u32_e32 vcc, v8, v9
	s_or_b64 s[2:3], vcc, s[2:3]
	s_andn2_b64 exec, exec, s[2:3]
	s_cbranch_execnz .LBB22_14
; %bb.15:
	s_or_b64 exec, exec, s[2:3]
.LBB22_16:
	v_add_u32_e32 v0, v8, v7
	v_mov_b32_e32 v1, 0
	v_lshlrev_b64 v[4:5], 3, v[0:1]
	v_mov_b32_e32 v1, s11
	v_add_co_u32_e32 v4, vcc, s10, v4
	v_addc_co_u32_e32 v5, vcc, v1, v5, vcc
	v_mov_b32_e32 v1, s15
	v_add_co_u32_e32 v0, vcc, s14, v0
	s_waitcnt vmcnt(0)
	global_store_dwordx2 v[4:5], v[2:3], off
	v_addc_co_u32_e32 v1, vcc, 0, v1, vcc
	s_or_b64 s[6:7], s[6:7], exec
.LBB22_17:
	s_or_b64 exec, exec, s[12:13]
	s_branch .LBB22_24
.LBB22_18:
                                        ; implicit-def: $vgpr0_vgpr1
	s_cbranch_execz .LBB22_24
; %bb.19:
	s_cmp_ge_u32 s22, s18
	v_mov_b32_e32 v8, s20
	s_cbranch_scc1 .LBB22_23
; %bb.20:
	s_waitcnt vmcnt(0) lgkmcnt(0)
	v_and_b32_e32 v1, s5, v3
	v_and_b32_e32 v0, s4, v2
	s_mov_b64 s[2:3], 0
	v_mov_b32_e32 v9, s18
	v_mov_b32_e32 v8, s20
	;; [unrolled: 1-line block ×4, first 2 shown]
.LBB22_21:                              ; =>This Inner Loop Header: Depth=1
	v_add_u32_e32 v4, v8, v9
	v_lshrrev_b32_e32 v4, 1, v4
	v_lshlrev_b64 v[12:13], 3, v[4:5]
	v_add_co_u32_e32 v12, vcc, s8, v12
	v_addc_co_u32_e32 v13, vcc, v10, v13, vcc
	global_load_dwordx2 v[12:13], v[12:13], off
	v_add_u32_e32 v11, 1, v4
	s_waitcnt vmcnt(0)
	v_and_b32_e32 v13, s5, v13
	v_and_b32_e32 v12, s4, v12
	v_cmp_gt_i64_e32 vcc, v[0:1], v[12:13]
	v_cndmask_b32_e64 v14, 0, 1, vcc
	v_cmp_le_i64_e32 vcc, v[12:13], v[0:1]
	v_cndmask_b32_e64 v12, 0, 1, vcc
	v_cndmask_b32_e64 v12, v12, v14, s[0:1]
	v_and_b32_e32 v12, 1, v12
	v_cmp_eq_u32_e32 vcc, 1, v12
	v_cndmask_b32_e32 v9, v4, v9, vcc
	v_cndmask_b32_e32 v8, v8, v11, vcc
	v_cmp_ge_u32_e32 vcc, v8, v9
	s_or_b64 s[2:3], vcc, s[2:3]
	s_andn2_b64 exec, exec, s[2:3]
	s_cbranch_execnz .LBB22_21
; %bb.22:
	s_or_b64 exec, exec, s[2:3]
.LBB22_23:
	v_add_u32_e32 v0, v8, v7
	v_mov_b32_e32 v1, 0
	v_lshlrev_b64 v[4:5], 3, v[0:1]
	v_mov_b32_e32 v1, s11
	v_add_co_u32_e32 v4, vcc, s10, v4
	v_addc_co_u32_e32 v5, vcc, v1, v5, vcc
	v_mov_b32_e32 v1, s15
	v_add_co_u32_e32 v0, vcc, s14, v0
	v_addc_co_u32_e32 v1, vcc, 0, v1, vcc
	s_mov_b64 s[6:7], -1
	s_waitcnt vmcnt(0)
	global_store_dwordx2 v[4:5], v[2:3], off
.LBB22_24:
	s_and_b64 exec, exec, s[6:7]
	s_cbranch_execz .LBB22_26
; %bb.25:
	s_waitcnt vmcnt(1)
	global_store_byte v[0:1], v6, off
.LBB22_26:
	s_endpgm
	.section	.rodata,"a",@progbits
	.p2align	6, 0x0
	.amdhsa_kernel _ZN7rocprim17ROCPRIM_304000_NS6detail33device_block_merge_oddeven_kernelINS1_37wrapped_merge_sort_block_merge_configINS0_14default_configElN2at4cuda3cub6detail10OpaqueTypeILi1EEEEEPlSC_PSA_SD_jNS1_19radix_merge_compareILb0ELb1ElNS0_19identity_decomposerEEEEEvT0_T1_T2_T3_T4_SL_T5_
		.amdhsa_group_segment_fixed_size 0
		.amdhsa_private_segment_fixed_size 0
		.amdhsa_kernarg_size 48
		.amdhsa_user_sgpr_count 6
		.amdhsa_user_sgpr_private_segment_buffer 1
		.amdhsa_user_sgpr_dispatch_ptr 0
		.amdhsa_user_sgpr_queue_ptr 0
		.amdhsa_user_sgpr_kernarg_segment_ptr 1
		.amdhsa_user_sgpr_dispatch_id 0
		.amdhsa_user_sgpr_flat_scratch_init 0
		.amdhsa_user_sgpr_kernarg_preload_length 0
		.amdhsa_user_sgpr_kernarg_preload_offset 0
		.amdhsa_user_sgpr_private_segment_size 0
		.amdhsa_uses_dynamic_stack 0
		.amdhsa_system_sgpr_private_segment_wavefront_offset 0
		.amdhsa_system_sgpr_workgroup_id_x 1
		.amdhsa_system_sgpr_workgroup_id_y 0
		.amdhsa_system_sgpr_workgroup_id_z 0
		.amdhsa_system_sgpr_workgroup_info 0
		.amdhsa_system_vgpr_workitem_id 0
		.amdhsa_next_free_vgpr 15
		.amdhsa_next_free_sgpr 24
		.amdhsa_accum_offset 16
		.amdhsa_reserve_vcc 1
		.amdhsa_reserve_flat_scratch 0
		.amdhsa_float_round_mode_32 0
		.amdhsa_float_round_mode_16_64 0
		.amdhsa_float_denorm_mode_32 3
		.amdhsa_float_denorm_mode_16_64 3
		.amdhsa_dx10_clamp 1
		.amdhsa_ieee_mode 1
		.amdhsa_fp16_overflow 0
		.amdhsa_tg_split 0
		.amdhsa_exception_fp_ieee_invalid_op 0
		.amdhsa_exception_fp_denorm_src 0
		.amdhsa_exception_fp_ieee_div_zero 0
		.amdhsa_exception_fp_ieee_overflow 0
		.amdhsa_exception_fp_ieee_underflow 0
		.amdhsa_exception_fp_ieee_inexact 0
		.amdhsa_exception_int_div_zero 0
	.end_amdhsa_kernel
	.section	.text._ZN7rocprim17ROCPRIM_304000_NS6detail33device_block_merge_oddeven_kernelINS1_37wrapped_merge_sort_block_merge_configINS0_14default_configElN2at4cuda3cub6detail10OpaqueTypeILi1EEEEEPlSC_PSA_SD_jNS1_19radix_merge_compareILb0ELb1ElNS0_19identity_decomposerEEEEEvT0_T1_T2_T3_T4_SL_T5_,"axG",@progbits,_ZN7rocprim17ROCPRIM_304000_NS6detail33device_block_merge_oddeven_kernelINS1_37wrapped_merge_sort_block_merge_configINS0_14default_configElN2at4cuda3cub6detail10OpaqueTypeILi1EEEEEPlSC_PSA_SD_jNS1_19radix_merge_compareILb0ELb1ElNS0_19identity_decomposerEEEEEvT0_T1_T2_T3_T4_SL_T5_,comdat
.Lfunc_end22:
	.size	_ZN7rocprim17ROCPRIM_304000_NS6detail33device_block_merge_oddeven_kernelINS1_37wrapped_merge_sort_block_merge_configINS0_14default_configElN2at4cuda3cub6detail10OpaqueTypeILi1EEEEEPlSC_PSA_SD_jNS1_19radix_merge_compareILb0ELb1ElNS0_19identity_decomposerEEEEEvT0_T1_T2_T3_T4_SL_T5_, .Lfunc_end22-_ZN7rocprim17ROCPRIM_304000_NS6detail33device_block_merge_oddeven_kernelINS1_37wrapped_merge_sort_block_merge_configINS0_14default_configElN2at4cuda3cub6detail10OpaqueTypeILi1EEEEEPlSC_PSA_SD_jNS1_19radix_merge_compareILb0ELb1ElNS0_19identity_decomposerEEEEEvT0_T1_T2_T3_T4_SL_T5_
                                        ; -- End function
	.section	.AMDGPU.csdata,"",@progbits
; Kernel info:
; codeLenInByte = 864
; NumSgprs: 28
; NumVgprs: 15
; NumAgprs: 0
; TotalNumVgprs: 15
; ScratchSize: 0
; MemoryBound: 0
; FloatMode: 240
; IeeeMode: 1
; LDSByteSize: 0 bytes/workgroup (compile time only)
; SGPRBlocks: 3
; VGPRBlocks: 1
; NumSGPRsForWavesPerEU: 28
; NumVGPRsForWavesPerEU: 15
; AccumOffset: 16
; Occupancy: 8
; WaveLimiterHint : 0
; COMPUTE_PGM_RSRC2:SCRATCH_EN: 0
; COMPUTE_PGM_RSRC2:USER_SGPR: 6
; COMPUTE_PGM_RSRC2:TRAP_HANDLER: 0
; COMPUTE_PGM_RSRC2:TGID_X_EN: 1
; COMPUTE_PGM_RSRC2:TGID_Y_EN: 0
; COMPUTE_PGM_RSRC2:TGID_Z_EN: 0
; COMPUTE_PGM_RSRC2:TIDIG_COMP_CNT: 0
; COMPUTE_PGM_RSRC3_GFX90A:ACCUM_OFFSET: 3
; COMPUTE_PGM_RSRC3_GFX90A:TG_SPLIT: 0
	.section	.text._ZN7rocprim17ROCPRIM_304000_NS6detail26onesweep_histograms_kernelINS1_34wrapped_radix_sort_onesweep_configINS0_14default_configElN2at4cuda3cub6detail10OpaqueTypeILi1EEEEELb0EPKlmNS0_19identity_decomposerEEEvT1_PT2_SG_SG_T3_jj,"axG",@progbits,_ZN7rocprim17ROCPRIM_304000_NS6detail26onesweep_histograms_kernelINS1_34wrapped_radix_sort_onesweep_configINS0_14default_configElN2at4cuda3cub6detail10OpaqueTypeILi1EEEEELb0EPKlmNS0_19identity_decomposerEEEvT1_PT2_SG_SG_T3_jj,comdat
	.protected	_ZN7rocprim17ROCPRIM_304000_NS6detail26onesweep_histograms_kernelINS1_34wrapped_radix_sort_onesweep_configINS0_14default_configElN2at4cuda3cub6detail10OpaqueTypeILi1EEEEELb0EPKlmNS0_19identity_decomposerEEEvT1_PT2_SG_SG_T3_jj ; -- Begin function _ZN7rocprim17ROCPRIM_304000_NS6detail26onesweep_histograms_kernelINS1_34wrapped_radix_sort_onesweep_configINS0_14default_configElN2at4cuda3cub6detail10OpaqueTypeILi1EEEEELb0EPKlmNS0_19identity_decomposerEEEvT1_PT2_SG_SG_T3_jj
	.globl	_ZN7rocprim17ROCPRIM_304000_NS6detail26onesweep_histograms_kernelINS1_34wrapped_radix_sort_onesweep_configINS0_14default_configElN2at4cuda3cub6detail10OpaqueTypeILi1EEEEELb0EPKlmNS0_19identity_decomposerEEEvT1_PT2_SG_SG_T3_jj
	.p2align	8
	.type	_ZN7rocprim17ROCPRIM_304000_NS6detail26onesweep_histograms_kernelINS1_34wrapped_radix_sort_onesweep_configINS0_14default_configElN2at4cuda3cub6detail10OpaqueTypeILi1EEEEELb0EPKlmNS0_19identity_decomposerEEEvT1_PT2_SG_SG_T3_jj,@function
_ZN7rocprim17ROCPRIM_304000_NS6detail26onesweep_histograms_kernelINS1_34wrapped_radix_sort_onesweep_configINS0_14default_configElN2at4cuda3cub6detail10OpaqueTypeILi1EEEEELb0EPKlmNS0_19identity_decomposerEEEvT1_PT2_SG_SG_T3_jj: ; @_ZN7rocprim17ROCPRIM_304000_NS6detail26onesweep_histograms_kernelINS1_34wrapped_radix_sort_onesweep_configINS0_14default_configElN2at4cuda3cub6detail10OpaqueTypeILi1EEEEELb0EPKlmNS0_19identity_decomposerEEEvT1_PT2_SG_SG_T3_jj
; %bb.0:
	s_load_dwordx8 s[24:31], s[4:5], 0x0
	s_load_dwordx2 s[34:35], s[4:5], 0x24
	s_mov_b32 s7, 0
	s_mul_i32 s1, s6, 0x6000
	s_mul_hi_u32 s0, s6, 0x6000
	s_waitcnt lgkmcnt(0)
	v_pk_mov_b32 v[2:3], s[30:31], s[30:31] op_sel:[0,1]
	v_cmp_ge_u64_e32 vcc, s[6:7], v[2:3]
	s_add_u32 s24, s24, s1
	s_addc_u32 s25, s25, s0
	s_mov_b64 s[0:1], -1
	v_lshlrev_b32_e32 v1, 3, v0
	s_cbranch_vccz .LBB23_82
; %bb.1:
	s_mul_i32 s0, s30, 0xfffff400
	s_add_i32 s28, s0, s28
	v_mov_b32_e32 v2, s25
	v_add_co_u32_e32 v26, vcc, s24, v1
	v_addc_co_u32_e32 v27, vcc, 0, v2, vcc
	v_cmp_gt_u32_e64 s[22:23], s28, v0
                                        ; implicit-def: $vgpr24_vgpr25
	s_and_saveexec_b64 s[0:1], s[22:23]
	s_cbranch_execz .LBB23_3
; %bb.2:
	global_load_dwordx2 v[24:25], v[26:27], off
.LBB23_3:
	s_or_b64 exec, exec, s[0:1]
	v_or_b32_e32 v2, 0x100, v0
	v_cmp_gt_u32_e64 s[20:21], s28, v2
                                        ; implicit-def: $vgpr22_vgpr23
	s_and_saveexec_b64 s[0:1], s[20:21]
	s_cbranch_execz .LBB23_5
; %bb.4:
	global_load_dwordx2 v[22:23], v[26:27], off offset:2048
.LBB23_5:
	s_or_b64 exec, exec, s[0:1]
	v_or_b32_e32 v2, 0x200, v0
	v_cmp_gt_u32_e64 s[18:19], s28, v2
                                        ; implicit-def: $vgpr20_vgpr21
	s_and_saveexec_b64 s[0:1], s[18:19]
	s_cbranch_execz .LBB23_7
; %bb.6:
	v_add_co_u32_e32 v2, vcc, 0x1000, v26
	v_addc_co_u32_e32 v3, vcc, 0, v27, vcc
	global_load_dwordx2 v[20:21], v[2:3], off
.LBB23_7:
	s_or_b64 exec, exec, s[0:1]
	v_or_b32_e32 v2, 0x300, v0
	v_cmp_gt_u32_e64 s[16:17], s28, v2
                                        ; implicit-def: $vgpr18_vgpr19
	s_and_saveexec_b64 s[0:1], s[16:17]
	s_cbranch_execz .LBB23_9
; %bb.8:
	v_add_co_u32_e32 v2, vcc, 0x1000, v26
	v_addc_co_u32_e32 v3, vcc, 0, v27, vcc
	global_load_dwordx2 v[18:19], v[2:3], off offset:2048
.LBB23_9:
	s_or_b64 exec, exec, s[0:1]
	v_or_b32_e32 v2, 0x400, v0
	v_cmp_gt_u32_e64 s[14:15], s28, v2
                                        ; implicit-def: $vgpr16_vgpr17
	s_and_saveexec_b64 s[0:1], s[14:15]
	s_cbranch_execz .LBB23_11
; %bb.10:
	v_add_co_u32_e32 v2, vcc, 0x2000, v26
	v_addc_co_u32_e32 v3, vcc, 0, v27, vcc
	global_load_dwordx2 v[16:17], v[2:3], off
.LBB23_11:
	s_or_b64 exec, exec, s[0:1]
	v_or_b32_e32 v2, 0x500, v0
	v_cmp_gt_u32_e64 s[12:13], s28, v2
                                        ; implicit-def: $vgpr14_vgpr15
	s_and_saveexec_b64 s[0:1], s[12:13]
	s_cbranch_execz .LBB23_13
; %bb.12:
	v_add_co_u32_e32 v2, vcc, 0x2000, v26
	v_addc_co_u32_e32 v3, vcc, 0, v27, vcc
	global_load_dwordx2 v[14:15], v[2:3], off offset:2048
	s_waitcnt vmcnt(0)
	v_xor_b32_e32 v15, 0x80000000, v15
.LBB23_13:
	s_or_b64 exec, exec, s[0:1]
	v_or_b32_e32 v2, 0x600, v0
	v_cmp_gt_u32_e64 s[10:11], s28, v2
                                        ; implicit-def: $vgpr12_vgpr13
	s_and_saveexec_b64 s[0:1], s[10:11]
	s_cbranch_execz .LBB23_15
; %bb.14:
	v_add_co_u32_e32 v2, vcc, 0x3000, v26
	v_addc_co_u32_e32 v3, vcc, 0, v27, vcc
	global_load_dwordx2 v[12:13], v[2:3], off
	s_waitcnt vmcnt(0)
	v_xor_b32_e32 v13, 0x80000000, v13
.LBB23_15:
	s_or_b64 exec, exec, s[0:1]
	v_or_b32_e32 v2, 0x700, v0
	v_cmp_gt_u32_e64 s[8:9], s28, v2
                                        ; implicit-def: $vgpr10_vgpr11
	s_and_saveexec_b64 s[0:1], s[8:9]
	s_cbranch_execz .LBB23_17
; %bb.16:
	v_add_co_u32_e32 v2, vcc, 0x3000, v26
	v_addc_co_u32_e32 v3, vcc, 0, v27, vcc
	global_load_dwordx2 v[10:11], v[2:3], off offset:2048
	s_waitcnt vmcnt(0)
	v_xor_b32_e32 v11, 0x80000000, v11
.LBB23_17:
	s_or_b64 exec, exec, s[0:1]
	v_or_b32_e32 v2, 0x800, v0
	v_cmp_gt_u32_e64 s[6:7], s28, v2
                                        ; implicit-def: $vgpr8_vgpr9
	s_and_saveexec_b64 s[0:1], s[6:7]
	s_cbranch_execz .LBB23_19
; %bb.18:
	v_add_co_u32_e32 v2, vcc, 0x4000, v26
	v_addc_co_u32_e32 v3, vcc, 0, v27, vcc
	global_load_dwordx2 v[8:9], v[2:3], off
	s_waitcnt vmcnt(0)
	v_xor_b32_e32 v9, 0x80000000, v9
.LBB23_19:
	s_or_b64 exec, exec, s[0:1]
	v_or_b32_e32 v2, 0x900, v0
	v_cmp_gt_u32_e64 s[4:5], s28, v2
                                        ; implicit-def: $vgpr6_vgpr7
	s_and_saveexec_b64 s[0:1], s[4:5]
	s_cbranch_execz .LBB23_21
; %bb.20:
	v_add_co_u32_e32 v2, vcc, 0x4000, v26
	v_addc_co_u32_e32 v3, vcc, 0, v27, vcc
	global_load_dwordx2 v[6:7], v[2:3], off offset:2048
	s_waitcnt vmcnt(0)
	v_xor_b32_e32 v7, 0x80000000, v7
.LBB23_21:
	s_or_b64 exec, exec, s[0:1]
	v_or_b32_e32 v2, 0xa00, v0
	v_cmp_gt_u32_e64 s[2:3], s28, v2
                                        ; implicit-def: $vgpr4_vgpr5
	s_and_saveexec_b64 s[0:1], s[2:3]
	s_cbranch_execz .LBB23_23
; %bb.22:
	v_add_co_u32_e32 v2, vcc, 0x5000, v26
	v_addc_co_u32_e32 v3, vcc, 0, v27, vcc
	global_load_dwordx2 v[4:5], v[2:3], off
	s_waitcnt vmcnt(0)
	v_xor_b32_e32 v5, 0x80000000, v5
.LBB23_23:
	s_or_b64 exec, exec, s[0:1]
	v_or_b32_e32 v2, 0xb00, v0
	v_cmp_gt_u32_e64 s[0:1], s28, v2
                                        ; implicit-def: $vgpr2_vgpr3
	s_and_saveexec_b64 s[28:29], s[0:1]
	s_cbranch_execz .LBB23_25
; %bb.24:
	v_add_co_u32_e32 v2, vcc, 0x5000, v26
	v_addc_co_u32_e32 v3, vcc, 0, v27, vcc
	global_load_dwordx2 v[2:3], v[2:3], off offset:2048
	s_waitcnt vmcnt(0)
	v_xor_b32_e32 v3, 0x80000000, v3
.LBB23_25:
	s_or_b64 exec, exec, s[28:29]
	v_or_b32_e32 v26, 0xffffff00, v0
	v_lshlrev_b32_e32 v27, 2, v0
	s_mov_b64 s[28:29], 0
	v_mov_b32_e32 v28, 0
	s_movk_i32 s30, 0x1eff
.LBB23_26:                              ; =>This Inner Loop Header: Depth=1
	v_add_u32_e32 v26, 0x100, v26
	v_cmp_lt_u32_e32 vcc, s30, v26
	ds_write_b32 v27, v28
	s_or_b64 s[28:29], vcc, s[28:29]
	v_add_u32_e32 v27, 0x400, v27
	s_andn2_b64 exec, exec, s[28:29]
	s_cbranch_execnz .LBB23_26
; %bb.27:
	s_or_b64 exec, exec, s[28:29]
	s_cmp_gt_u32 s35, s34
	s_cselect_b64 s[28:29], -1, 0
	s_cmp_le_u32 s35, s34
	s_waitcnt lgkmcnt(0)
	s_barrier
	s_cbranch_scc1 .LBB23_76
; %bb.28:
	v_and_b32_e32 v26, 3, v0
	v_lshlrev_b32_e32 v26, 2, v26
	s_sub_i32 s33, s35, s34
	s_waitcnt vmcnt(0)
	v_xor_b32_e32 v25, 0x80000000, v25
	v_mov_b32_e32 v27, 1
	s_mov_b32 s36, s33
	v_mov_b32_e32 v28, v26
	s_mov_b32 s37, s34
	s_branch .LBB23_30
.LBB23_29:                              ;   in Loop: Header=BB23_30 Depth=1
	s_or_b64 exec, exec, s[30:31]
	s_add_i32 s37, s37, 8
	s_add_i32 s36, s36, -8
	s_cmp_lt_u32 s37, s35
	v_add_u32_e32 v28, 0x1000, v28
	s_cbranch_scc0 .LBB23_32
.LBB23_30:                              ; =>This Inner Loop Header: Depth=1
	s_and_saveexec_b64 s[30:31], s[22:23]
	s_cbranch_execz .LBB23_29
; %bb.31:                               ;   in Loop: Header=BB23_30 Depth=1
	s_min_u32 s38, s36, 8
	v_lshrrev_b64 v[30:31], s37, v[24:25]
	v_bfe_u32 v29, v30, 0, s38
	v_lshl_add_u32 v29, v29, 4, v28
	ds_add_u32 v29, v27
	s_branch .LBB23_29
.LBB23_32:
	v_xor_b32_e32 v23, 0x80000000, v23
	v_mov_b32_e32 v24, 1
	s_mov_b32 s30, s33
	v_mov_b32_e32 v25, v26
	s_mov_b32 s31, s34
	s_branch .LBB23_34
.LBB23_33:                              ;   in Loop: Header=BB23_34 Depth=1
	s_or_b64 exec, exec, s[22:23]
	s_add_i32 s31, s31, 8
	s_add_i32 s30, s30, -8
	s_cmp_lt_u32 s31, s35
	v_add_u32_e32 v25, 0x1000, v25
	s_cbranch_scc0 .LBB23_36
.LBB23_34:                              ; =>This Inner Loop Header: Depth=1
	s_and_saveexec_b64 s[22:23], s[20:21]
	s_cbranch_execz .LBB23_33
; %bb.35:                               ;   in Loop: Header=BB23_34 Depth=1
	s_min_u32 s36, s30, 8
	v_lshrrev_b64 v[28:29], s31, v[22:23]
	v_bfe_u32 v27, v28, 0, s36
	v_lshl_add_u32 v27, v27, 4, v25
	ds_add_u32 v27, v24
	s_branch .LBB23_33
.LBB23_36:
	;; [unrolled: 24-line block ×5, first 2 shown]
	v_mov_b32_e32 v16, 1
	s_mov_b32 s16, s33
	v_mov_b32_e32 v17, v26
	s_mov_b32 s17, s34
	s_branch .LBB23_50
.LBB23_49:                              ;   in Loop: Header=BB23_50 Depth=1
	s_or_b64 exec, exec, s[14:15]
	s_add_i32 s17, s17, 8
	s_add_i32 s16, s16, -8
	s_cmp_lt_u32 s17, s35
	v_add_u32_e32 v17, 0x1000, v17
	s_cbranch_scc0 .LBB23_52
.LBB23_50:                              ; =>This Inner Loop Header: Depth=1
	s_and_saveexec_b64 s[14:15], s[12:13]
	s_cbranch_execz .LBB23_49
; %bb.51:                               ;   in Loop: Header=BB23_50 Depth=1
	s_min_u32 s18, s16, 8
	v_lshrrev_b64 v[18:19], s17, v[14:15]
	v_bfe_u32 v18, v18, 0, s18
	v_lshl_add_u32 v18, v18, 4, v17
	ds_add_u32 v18, v16
	s_branch .LBB23_49
.LBB23_52:
	v_mov_b32_e32 v14, 1
	s_mov_b32 s14, s33
	v_mov_b32_e32 v15, v26
	s_mov_b32 s15, s34
	s_branch .LBB23_54
.LBB23_53:                              ;   in Loop: Header=BB23_54 Depth=1
	s_or_b64 exec, exec, s[12:13]
	s_add_i32 s15, s15, 8
	s_add_i32 s14, s14, -8
	s_cmp_lt_u32 s15, s35
	v_add_u32_e32 v15, 0x1000, v15
	s_cbranch_scc0 .LBB23_56
.LBB23_54:                              ; =>This Inner Loop Header: Depth=1
	s_and_saveexec_b64 s[12:13], s[10:11]
	s_cbranch_execz .LBB23_53
; %bb.55:                               ;   in Loop: Header=BB23_54 Depth=1
	s_min_u32 s16, s14, 8
	v_lshrrev_b64 v[16:17], s15, v[12:13]
	v_bfe_u32 v16, v16, 0, s16
	v_lshl_add_u32 v16, v16, 4, v15
	ds_add_u32 v16, v14
	s_branch .LBB23_53
.LBB23_56:
	v_mov_b32_e32 v12, 1
	s_mov_b32 s12, s33
	v_mov_b32_e32 v13, v26
	s_mov_b32 s13, s34
	s_branch .LBB23_58
.LBB23_57:                              ;   in Loop: Header=BB23_58 Depth=1
	s_or_b64 exec, exec, s[10:11]
	s_add_i32 s13, s13, 8
	s_add_i32 s12, s12, -8
	s_cmp_lt_u32 s13, s35
	v_add_u32_e32 v13, 0x1000, v13
	s_cbranch_scc0 .LBB23_60
.LBB23_58:                              ; =>This Inner Loop Header: Depth=1
	s_and_saveexec_b64 s[10:11], s[8:9]
	s_cbranch_execz .LBB23_57
; %bb.59:                               ;   in Loop: Header=BB23_58 Depth=1
	s_min_u32 s14, s12, 8
	v_lshrrev_b64 v[14:15], s13, v[10:11]
	v_bfe_u32 v14, v14, 0, s14
	v_lshl_add_u32 v14, v14, 4, v13
	ds_add_u32 v14, v12
	s_branch .LBB23_57
.LBB23_60:
	v_mov_b32_e32 v10, 1
	s_mov_b32 s10, s33
	v_mov_b32_e32 v11, v26
	s_mov_b32 s11, s34
	s_branch .LBB23_62
.LBB23_61:                              ;   in Loop: Header=BB23_62 Depth=1
	s_or_b64 exec, exec, s[8:9]
	s_add_i32 s11, s11, 8
	s_add_i32 s10, s10, -8
	s_cmp_lt_u32 s11, s35
	v_add_u32_e32 v11, 0x1000, v11
	s_cbranch_scc0 .LBB23_64
.LBB23_62:                              ; =>This Inner Loop Header: Depth=1
	s_and_saveexec_b64 s[8:9], s[6:7]
	s_cbranch_execz .LBB23_61
; %bb.63:                               ;   in Loop: Header=BB23_62 Depth=1
	s_min_u32 s12, s10, 8
	v_lshrrev_b64 v[12:13], s11, v[8:9]
	v_bfe_u32 v12, v12, 0, s12
	v_lshl_add_u32 v12, v12, 4, v11
	ds_add_u32 v12, v10
	s_branch .LBB23_61
.LBB23_64:
	v_mov_b32_e32 v8, 1
	s_mov_b32 s8, s33
	v_mov_b32_e32 v9, v26
	s_mov_b32 s9, s34
	s_branch .LBB23_66
.LBB23_65:                              ;   in Loop: Header=BB23_66 Depth=1
	s_or_b64 exec, exec, s[6:7]
	s_add_i32 s9, s9, 8
	s_add_i32 s8, s8, -8
	s_cmp_lt_u32 s9, s35
	v_add_u32_e32 v9, 0x1000, v9
	s_cbranch_scc0 .LBB23_68
.LBB23_66:                              ; =>This Inner Loop Header: Depth=1
	s_and_saveexec_b64 s[6:7], s[4:5]
	s_cbranch_execz .LBB23_65
; %bb.67:                               ;   in Loop: Header=BB23_66 Depth=1
	s_min_u32 s10, s8, 8
	v_lshrrev_b64 v[10:11], s9, v[6:7]
	v_bfe_u32 v10, v10, 0, s10
	v_lshl_add_u32 v10, v10, 4, v9
	ds_add_u32 v10, v8
	s_branch .LBB23_65
.LBB23_68:
	v_mov_b32_e32 v6, 1
	s_mov_b32 s6, s33
	v_mov_b32_e32 v7, v26
	s_mov_b32 s7, s34
	s_branch .LBB23_70
.LBB23_69:                              ;   in Loop: Header=BB23_70 Depth=1
	s_or_b64 exec, exec, s[4:5]
	s_add_i32 s7, s7, 8
	s_add_i32 s6, s6, -8
	s_cmp_lt_u32 s7, s35
	v_add_u32_e32 v7, 0x1000, v7
	s_cbranch_scc0 .LBB23_72
.LBB23_70:                              ; =>This Inner Loop Header: Depth=1
	s_and_saveexec_b64 s[4:5], s[2:3]
	s_cbranch_execz .LBB23_69
; %bb.71:                               ;   in Loop: Header=BB23_70 Depth=1
	s_min_u32 s8, s6, 8
	v_lshrrev_b64 v[8:9], s7, v[4:5]
	v_bfe_u32 v8, v8, 0, s8
	v_lshl_add_u32 v8, v8, 4, v7
	ds_add_u32 v8, v6
	s_branch .LBB23_69
.LBB23_72:
	v_mov_b32_e32 v4, 1
	s_mov_b32 s4, s34
	s_branch .LBB23_74
.LBB23_73:                              ;   in Loop: Header=BB23_74 Depth=1
	s_or_b64 exec, exec, s[2:3]
	s_add_i32 s4, s4, 8
	s_add_i32 s33, s33, -8
	s_cmp_lt_u32 s4, s35
	v_add_u32_e32 v26, 0x1000, v26
	s_cbranch_scc0 .LBB23_76
.LBB23_74:                              ; =>This Inner Loop Header: Depth=1
	s_and_saveexec_b64 s[2:3], s[0:1]
	s_cbranch_execz .LBB23_73
; %bb.75:                               ;   in Loop: Header=BB23_74 Depth=1
	s_min_u32 s5, s33, 8
	v_lshrrev_b64 v[6:7], s4, v[2:3]
	v_bfe_u32 v5, v6, 0, s5
	v_lshl_add_u32 v5, v5, 4, v26
	ds_add_u32 v5, v4
	s_branch .LBB23_73
.LBB23_76:
	s_and_b64 vcc, exec, s[28:29]
	s_waitcnt lgkmcnt(0)
	s_barrier
	s_cbranch_vccz .LBB23_81
; %bb.77:
	s_movk_i32 s0, 0x100
	v_cmp_gt_u32_e32 vcc, s0, v0
	v_lshlrev_b32_e32 v4, 4, v0
	v_mov_b32_e32 v3, 0
	v_mov_b32_e32 v2, v0
	s_mov_b32 s4, s34
	s_branch .LBB23_79
.LBB23_78:                              ;   in Loop: Header=BB23_79 Depth=1
	s_or_b64 exec, exec, s[2:3]
	s_add_i32 s4, s4, 8
	v_add_u32_e32 v2, 0x100, v2
	s_cmp_lt_u32 s4, s35
	v_add_u32_e32 v4, 0x1000, v4
	s_cbranch_scc0 .LBB23_81
.LBB23_79:                              ; =>This Inner Loop Header: Depth=1
	s_and_saveexec_b64 s[2:3], vcc
	s_cbranch_execz .LBB23_78
; %bb.80:                               ;   in Loop: Header=BB23_79 Depth=1
	ds_read2_b32 v[6:7], v4 offset1:1
	ds_read2_b32 v[8:9], v4 offset0:2 offset1:3
	v_lshlrev_b64 v[10:11], 3, v[2:3]
	v_mov_b32_e32 v5, s27
	s_waitcnt lgkmcnt(1)
	v_add_u32_e32 v6, v7, v6
	s_waitcnt lgkmcnt(0)
	v_add3_u32 v6, v6, v8, v9
	v_add_co_u32_e64 v8, s[0:1], s26, v10
	v_addc_co_u32_e64 v9, s[0:1], v5, v11, s[0:1]
	v_mov_b32_e32 v7, v3
	global_atomic_add_x2 v[8:9], v[6:7], off
	s_branch .LBB23_78
.LBB23_81:
	s_mov_b64 s[0:1], 0
.LBB23_82:
	s_and_b64 vcc, exec, s[0:1]
	s_cbranch_vccz .LBB23_122
; %bb.83:
	v_mov_b32_e32 v2, s25
	s_waitcnt vmcnt(0)
	v_add_co_u32_e32 v24, vcc, s24, v1
	v_addc_co_u32_e32 v25, vcc, 0, v2, vcc
	v_add_co_u32_e32 v2, vcc, 0x1000, v24
	v_addc_co_u32_e32 v3, vcc, 0, v25, vcc
	;; [unrolled: 2-line block ×3, first 2 shown]
	global_load_dwordx2 v[22:23], v1, s[24:25] offset:2048
	global_load_dwordx2 v[20:21], v[2:3], off
	global_load_dwordx2 v[18:19], v[2:3], off offset:2048
	global_load_dwordx2 v[16:17], v[4:5], off
	global_load_dwordx2 v[14:15], v[4:5], off offset:2048
	v_add_co_u32_e32 v2, vcc, 0x3000, v24
	v_addc_co_u32_e32 v3, vcc, 0, v25, vcc
	v_add_co_u32_e32 v4, vcc, 0x4000, v24
	v_addc_co_u32_e32 v5, vcc, 0, v25, vcc
	v_add_co_u32_e32 v26, vcc, 0x5000, v24
	global_load_dwordx2 v[12:13], v[2:3], off
	global_load_dwordx2 v[10:11], v[2:3], off offset:2048
	global_load_dwordx2 v[8:9], v[4:5], off
	global_load_dwordx2 v[6:7], v[4:5], off offset:2048
	v_addc_co_u32_e32 v27, vcc, 0, v25, vcc
	global_load_dwordx2 v[4:5], v[26:27], off
	global_load_dwordx2 v[24:25], v1, s[24:25]
	global_load_dwordx2 v[2:3], v[26:27], off offset:2048
	s_cmp_eq_u32 s34, 0
	s_cselect_b64 s[0:1], -1, 0
	s_cmp_eq_u32 s35, 64
	s_cselect_b64 s[2:3], -1, 0
	s_and_b64 s[2:3], s[0:1], s[2:3]
	s_mov_b64 s[0:1], -1
	s_and_b64 vcc, exec, s[2:3]
	v_lshlrev_b32_e32 v28, 2, v0
	s_cbranch_vccnz .LBB23_117
; %bb.84:
	v_or_b32_e32 v26, 0xffffff00, v0
	v_lshlrev_b32_e32 v27, 2, v0
	s_mov_b64 s[0:1], 0
	v_mov_b32_e32 v29, 0
	s_movk_i32 s2, 0x1eff
.LBB23_85:                              ; =>This Inner Loop Header: Depth=1
	v_add_u32_e32 v26, 0x100, v26
	v_cmp_lt_u32_e32 vcc, s2, v26
	ds_write_b32 v27, v29
	s_or_b64 s[0:1], vcc, s[0:1]
	v_add_u32_e32 v27, 0x400, v27
	s_andn2_b64 exec, exec, s[0:1]
	s_cbranch_execnz .LBB23_85
; %bb.86:
	s_or_b64 exec, exec, s[0:1]
	s_cmp_gt_u32 s35, s34
	s_cselect_b64 s[0:1], -1, 0
	s_cmp_le_u32 s35, s34
	s_waitcnt lgkmcnt(0)
	s_barrier
	s_cbranch_scc1 .LBB23_111
; %bb.87:
	v_and_b32_e32 v29, 3, v0
	v_lshlrev_b32_e32 v29, 2, v29
	s_sub_i32 s2, s35, s34
	s_waitcnt vmcnt(1)
	v_xor_b32_e32 v27, 0x80000000, v25
	v_mov_b32_e32 v26, v24
	v_mov_b32_e32 v30, 1
	s_mov_b32 s3, s2
	v_mov_b32_e32 v31, v29
	s_mov_b32 s4, s34
.LBB23_88:                              ; =>This Inner Loop Header: Depth=1
	s_min_u32 s5, s3, 8
	v_lshrrev_b64 v[32:33], s4, v[26:27]
	v_bfe_u32 v32, v32, 0, s5
	v_lshl_add_u32 v32, v32, 4, v31
	ds_add_u32 v32, v30
	s_add_i32 s4, s4, 8
	s_add_i32 s3, s3, -8
	s_cmp_lt_u32 s4, s35
	v_add_u32_e32 v31, 0x1000, v31
	s_cbranch_scc1 .LBB23_88
; %bb.89:
	v_xor_b32_e32 v27, 0x80000000, v23
	v_mov_b32_e32 v26, v22
	v_mov_b32_e32 v30, 1
	s_mov_b32 s3, s2
	v_mov_b32_e32 v31, v29
	s_mov_b32 s4, s34
.LBB23_90:                              ; =>This Inner Loop Header: Depth=1
	s_min_u32 s5, s3, 8
	v_lshrrev_b64 v[32:33], s4, v[26:27]
	v_bfe_u32 v32, v32, 0, s5
	v_lshl_add_u32 v32, v32, 4, v31
	ds_add_u32 v32, v30
	s_add_i32 s4, s4, 8
	s_add_i32 s3, s3, -8
	s_cmp_lt_u32 s4, s35
	v_add_u32_e32 v31, 0x1000, v31
	s_cbranch_scc1 .LBB23_90
; %bb.91:
	;; [unrolled: 18-line block ×6, first 2 shown]
	v_xor_b32_e32 v27, 0x80000000, v13
	v_mov_b32_e32 v26, v12
	v_mov_b32_e32 v30, 1
	s_mov_b32 s3, s2
	v_mov_b32_e32 v31, v29
	s_mov_b32 s4, s34
.LBB23_100:                             ; =>This Inner Loop Header: Depth=1
	s_min_u32 s5, s3, 8
	v_lshrrev_b64 v[32:33], s4, v[26:27]
	v_bfe_u32 v32, v32, 0, s5
	v_lshl_add_u32 v32, v32, 4, v31
	ds_add_u32 v32, v30
	s_add_i32 s4, s4, 8
	s_add_i32 s3, s3, -8
	s_cmp_lt_u32 s4, s35
	v_add_u32_e32 v31, 0x1000, v31
	s_cbranch_scc1 .LBB23_100
; %bb.101:
	v_xor_b32_e32 v27, 0x80000000, v11
	v_mov_b32_e32 v26, v10
	v_mov_b32_e32 v30, 1
	s_mov_b32 s3, s2
	v_mov_b32_e32 v31, v29
	s_mov_b32 s4, s34
.LBB23_102:                             ; =>This Inner Loop Header: Depth=1
	s_min_u32 s5, s3, 8
	v_lshrrev_b64 v[32:33], s4, v[26:27]
	v_bfe_u32 v32, v32, 0, s5
	v_lshl_add_u32 v32, v32, 4, v31
	ds_add_u32 v32, v30
	s_add_i32 s4, s4, 8
	s_add_i32 s3, s3, -8
	s_cmp_lt_u32 s4, s35
	v_add_u32_e32 v31, 0x1000, v31
	s_cbranch_scc1 .LBB23_102
; %bb.103:
	;; [unrolled: 18-line block ×5, first 2 shown]
	s_waitcnt vmcnt(0)
	v_xor_b32_e32 v27, 0x80000000, v3
	v_mov_b32_e32 v26, v2
	v_mov_b32_e32 v30, 1
	s_mov_b32 s3, s34
.LBB23_110:                             ; =>This Inner Loop Header: Depth=1
	s_min_u32 s4, s2, 8
	v_lshrrev_b64 v[32:33], s3, v[26:27]
	v_bfe_u32 v31, v32, 0, s4
	v_lshl_add_u32 v31, v31, 4, v29
	ds_add_u32 v31, v30
	s_add_i32 s3, s3, 8
	s_add_i32 s2, s2, -8
	s_cmp_lt_u32 s3, s35
	v_add_u32_e32 v29, 0x1000, v29
	s_cbranch_scc1 .LBB23_110
.LBB23_111:
	s_and_b64 vcc, exec, s[0:1]
	s_waitcnt lgkmcnt(0)
	s_barrier
	s_cbranch_vccz .LBB23_116
; %bb.112:
	s_movk_i32 s0, 0x100
	v_cmp_gt_u32_e32 vcc, s0, v0
	v_lshlrev_b32_e32 v29, 4, v0
	v_mov_b32_e32 v27, 0
	v_mov_b32_e32 v26, v0
	s_branch .LBB23_114
.LBB23_113:                             ;   in Loop: Header=BB23_114 Depth=1
	s_or_b64 exec, exec, s[2:3]
	s_add_i32 s34, s34, 8
	v_add_u32_e32 v26, 0x100, v26
	s_cmp_ge_u32 s34, s35
	v_add_u32_e32 v29, 0x1000, v29
	s_cbranch_scc1 .LBB23_116
.LBB23_114:                             ; =>This Inner Loop Header: Depth=1
	s_and_saveexec_b64 s[2:3], vcc
	s_cbranch_execz .LBB23_113
; %bb.115:                              ;   in Loop: Header=BB23_114 Depth=1
	ds_read2_b32 v[30:31], v29 offset1:1
	ds_read2_b32 v[32:33], v29 offset0:2 offset1:3
	v_lshlrev_b64 v[34:35], 3, v[26:27]
	v_mov_b32_e32 v36, s27
	s_waitcnt lgkmcnt(1)
	v_add_u32_e32 v30, v31, v30
	s_waitcnt lgkmcnt(0)
	v_add3_u32 v30, v30, v32, v33
	v_add_co_u32_e64 v32, s[0:1], s26, v34
	v_addc_co_u32_e64 v33, s[0:1], v36, v35, s[0:1]
	v_mov_b32_e32 v31, v27
	global_atomic_add_x2 v[32:33], v[30:31], off
	s_branch .LBB23_113
.LBB23_116:
	s_mov_b64 s[0:1], 0
.LBB23_117:
	s_and_b64 vcc, exec, s[0:1]
	s_cbranch_vccz .LBB23_122
; %bb.118:
	v_or_b32_e32 v26, 0xffffff00, v0
	s_mov_b64 s[0:1], 0
	v_mov_b32_e32 v27, 0
	s_movk_i32 s2, 0x1eff
	v_mov_b32_e32 v29, v28
.LBB23_119:                             ; =>This Inner Loop Header: Depth=1
	v_add_u32_e32 v26, 0x100, v26
	v_cmp_lt_u32_e32 vcc, s2, v26
	ds_write_b32 v29, v27
	s_or_b64 s[0:1], vcc, s[0:1]
	v_add_u32_e32 v29, 0x400, v29
	s_andn2_b64 exec, exec, s[0:1]
	s_cbranch_execnz .LBB23_119
; %bb.120:
	s_or_b64 exec, exec, s[0:1]
	v_and_b32_e32 v26, 3, v0
	s_waitcnt vmcnt(1)
	v_lshlrev_b32_e32 v27, 2, v24
	s_movk_i32 s0, 0x3fc
	v_and_or_b32 v27, v27, s0, v26
	v_lshlrev_b32_e32 v27, 2, v27
	v_mov_b32_e32 v29, 1
	s_waitcnt lgkmcnt(0)
	s_barrier
	ds_add_u32 v27, v29
	v_bfe_u32 v27, v24, 8, 8
	v_lshl_or_b32 v27, v27, 2, v26
	v_lshlrev_b32_e32 v27, 2, v27
	ds_add_u32 v27, v29 offset:4096
	v_bfe_u32 v27, v24, 16, 8
	v_lshl_or_b32 v27, v27, 2, v26
	v_lshlrev_b32_e32 v27, 2, v27
	ds_add_u32 v27, v29 offset:8192
	v_lshrrev_b32_e32 v27, 24, v24
	v_lshl_or_b32 v27, v27, 2, v26
	v_alignbit_b32 v24, v25, v24, 30
	v_lshlrev_b32_e32 v27, 2, v27
	v_and_or_b32 v24, v24, s0, v26
	ds_add_u32 v27, v29 offset:12288
	v_lshlrev_b32_e32 v24, 2, v24
	ds_add_u32 v24, v29 offset:16384
	v_bfe_u32 v24, v25, 8, 8
	v_lshl_or_b32 v24, v24, 2, v26
	v_lshlrev_b32_e32 v24, 2, v24
	ds_add_u32 v24, v29 offset:20480
	v_bfe_u32 v24, v25, 16, 8
	v_lshl_or_b32 v24, v24, 2, v26
	v_lshlrev_b32_e32 v24, 2, v24
	ds_add_u32 v24, v29 offset:24576
	v_lshrrev_b32_e32 v24, 24, v25
	v_or_b32_e32 v25, 0x1c00, v26
	v_lshl_or_b32 v24, v24, 2, v25
	v_xor_b32_e32 v24, 0x200, v24
	v_lshlrev_b32_e32 v24, 2, v24
	ds_add_u32 v24, v29
	v_lshlrev_b32_e32 v24, 2, v22
	v_and_or_b32 v24, v24, s0, v26
	v_lshlrev_b32_e32 v24, 2, v24
	ds_add_u32 v24, v29
	v_bfe_u32 v24, v22, 8, 8
	v_lshl_or_b32 v24, v24, 2, v26
	v_lshlrev_b32_e32 v24, 2, v24
	ds_add_u32 v24, v29 offset:4096
	v_bfe_u32 v24, v22, 16, 8
	v_lshl_or_b32 v24, v24, 2, v26
	v_lshlrev_b32_e32 v24, 2, v24
	ds_add_u32 v24, v29 offset:8192
	v_lshrrev_b32_e32 v24, 24, v22
	v_lshl_or_b32 v24, v24, 2, v26
	v_alignbit_b32 v22, v23, v22, 30
	v_lshlrev_b32_e32 v24, 2, v24
	v_and_or_b32 v22, v22, s0, v26
	ds_add_u32 v24, v29 offset:12288
	v_lshlrev_b32_e32 v22, 2, v22
	ds_add_u32 v22, v29 offset:16384
	v_bfe_u32 v22, v23, 8, 8
	v_lshl_or_b32 v22, v22, 2, v26
	v_lshlrev_b32_e32 v22, 2, v22
	ds_add_u32 v22, v29 offset:20480
	v_bfe_u32 v22, v23, 16, 8
	v_lshl_or_b32 v22, v22, 2, v26
	v_lshlrev_b32_e32 v22, 2, v22
	ds_add_u32 v22, v29 offset:24576
	v_lshrrev_b32_e32 v22, 24, v23
	v_lshl_or_b32 v22, v22, 2, v25
	v_xor_b32_e32 v22, 0x200, v22
	v_lshlrev_b32_e32 v22, 2, v22
	ds_add_u32 v22, v29
	v_lshlrev_b32_e32 v22, 2, v20
	v_and_or_b32 v22, v22, s0, v26
	v_lshlrev_b32_e32 v22, 2, v22
	ds_add_u32 v22, v29
	v_bfe_u32 v22, v20, 8, 8
	v_lshl_or_b32 v22, v22, 2, v26
	v_lshlrev_b32_e32 v22, 2, v22
	ds_add_u32 v22, v29 offset:4096
	v_bfe_u32 v22, v20, 16, 8
	v_lshl_or_b32 v22, v22, 2, v26
	v_lshlrev_b32_e32 v22, 2, v22
	ds_add_u32 v22, v29 offset:8192
	v_lshrrev_b32_e32 v22, 24, v20
	v_lshl_or_b32 v22, v22, 2, v26
	v_alignbit_b32 v20, v21, v20, 30
	v_lshlrev_b32_e32 v22, 2, v22
	v_and_or_b32 v20, v20, s0, v26
	ds_add_u32 v22, v29 offset:12288
	v_lshlrev_b32_e32 v20, 2, v20
	ds_add_u32 v20, v29 offset:16384
	v_bfe_u32 v20, v21, 8, 8
	v_lshl_or_b32 v20, v20, 2, v26
	v_lshlrev_b32_e32 v20, 2, v20
	ds_add_u32 v20, v29 offset:20480
	v_bfe_u32 v20, v21, 16, 8
	v_lshl_or_b32 v20, v20, 2, v26
	v_lshlrev_b32_e32 v20, 2, v20
	ds_add_u32 v20, v29 offset:24576
	v_lshrrev_b32_e32 v20, 24, v21
	;; [unrolled: 33-line block ×10, first 2 shown]
	v_lshl_or_b32 v4, v4, 2, v25
	v_xor_b32_e32 v4, 0x200, v4
	v_lshlrev_b32_e32 v4, 2, v4
	ds_add_u32 v4, v29
	s_waitcnt vmcnt(0)
	v_lshlrev_b32_e32 v4, 2, v2
	v_and_or_b32 v4, v4, s0, v26
	v_lshlrev_b32_e32 v4, 2, v4
	ds_add_u32 v4, v29
	v_bfe_u32 v4, v2, 8, 8
	v_lshl_or_b32 v4, v4, 2, v26
	v_lshlrev_b32_e32 v4, 2, v4
	ds_add_u32 v4, v29 offset:4096
	v_bfe_u32 v4, v2, 16, 8
	v_lshl_or_b32 v4, v4, 2, v26
	v_lshlrev_b32_e32 v4, 2, v4
	ds_add_u32 v4, v29 offset:8192
	v_lshrrev_b32_e32 v4, 24, v2
	v_lshl_or_b32 v4, v4, 2, v26
	v_alignbit_b32 v2, v3, v2, 30
	v_lshlrev_b32_e32 v4, 2, v4
	v_and_or_b32 v2, v2, s0, v26
	ds_add_u32 v4, v29 offset:12288
	v_lshlrev_b32_e32 v2, 2, v2
	ds_add_u32 v2, v29 offset:16384
	v_bfe_u32 v2, v3, 8, 8
	v_lshl_or_b32 v2, v2, 2, v26
	v_lshlrev_b32_e32 v2, 2, v2
	ds_add_u32 v2, v29 offset:20480
	v_bfe_u32 v2, v3, 16, 8
	v_lshl_or_b32 v2, v2, 2, v26
	v_lshlrev_b32_e32 v2, 2, v2
	ds_add_u32 v2, v29 offset:24576
	v_lshrrev_b32_e32 v2, 24, v3
	v_lshl_or_b32 v2, v2, 2, v25
	v_xor_b32_e32 v2, 0x200, v2
	v_lshlrev_b32_e32 v2, 2, v2
	ds_add_u32 v2, v29
	s_movk_i32 s0, 0x100
	v_cmp_gt_u32_e32 vcc, s0, v0
	s_waitcnt lgkmcnt(0)
	s_barrier
	s_and_saveexec_b64 s[0:1], vcc
	s_cbranch_execz .LBB23_122
; %bb.121:
	v_lshlrev_b32_e32 v0, 2, v28
	ds_read2_b32 v[2:3], v0 offset1:1
	ds_read2_b32 v[4:5], v0 offset0:2 offset1:3
	v_mov_b32_e32 v7, 0
	v_or_b32_e32 v8, 0x1000, v0
	v_add_u32_e32 v9, 0x1008, v0
	s_waitcnt lgkmcnt(1)
	v_add_u32_e32 v2, v3, v2
	s_waitcnt lgkmcnt(0)
	v_add3_u32 v6, v2, v4, v5
	global_atomic_add_x2 v1, v[6:7], s[26:27]
	ds_read2_b32 v[2:3], v8 offset1:1
	ds_read2_b32 v[4:5], v9 offset1:1
	v_or_b32_e32 v8, 0x2000, v0
	v_add_u32_e32 v9, 0x2008, v0
	v_add_u32_e32 v10, 0x3008, v0
	s_waitcnt lgkmcnt(1)
	v_add_u32_e32 v2, v3, v2
	s_waitcnt lgkmcnt(0)
	v_add3_u32 v6, v2, v4, v5
	global_atomic_add_x2 v1, v[6:7], s[26:27] offset:2048
	ds_read2_b32 v[2:3], v8 offset1:1
	ds_read2_b32 v[4:5], v9 offset1:1
	v_or_b32_e32 v8, 0x1000, v1
	v_or_b32_e32 v9, 0x3000, v0
	s_waitcnt lgkmcnt(1)
	v_add_u32_e32 v2, v3, v2
	s_waitcnt lgkmcnt(0)
	v_add3_u32 v6, v2, v4, v5
	global_atomic_add_x2 v8, v[6:7], s[26:27]
	ds_read2_b32 v[2:3], v9 offset1:1
	ds_read2_b32 v[4:5], v10 offset1:1
	v_or_b32_e32 v8, 0x1800, v1
	v_or_b32_e32 v9, 0x4000, v0
	v_add_u32_e32 v10, 0x4008, v0
	s_waitcnt lgkmcnt(1)
	v_add_u32_e32 v2, v3, v2
	s_waitcnt lgkmcnt(0)
	v_add3_u32 v6, v2, v4, v5
	global_atomic_add_x2 v8, v[6:7], s[26:27]
	ds_read2_b32 v[2:3], v9 offset1:1
	ds_read2_b32 v[4:5], v10 offset1:1
	v_or_b32_e32 v8, 0x2000, v1
	v_or_b32_e32 v9, 0x5000, v0
	v_add_u32_e32 v10, 0x5008, v0
	;; [unrolled: 10-line block ×4, first 2 shown]
	s_waitcnt lgkmcnt(1)
	v_add_u32_e32 v2, v3, v2
	s_waitcnt lgkmcnt(0)
	v_add3_u32 v6, v2, v4, v5
	global_atomic_add_x2 v8, v[6:7], s[26:27]
	ds_read2_b32 v[2:3], v9 offset1:1
	ds_read2_b32 v[4:5], v0 offset1:1
	s_waitcnt lgkmcnt(1)
	v_add_u32_e32 v0, v3, v2
	s_waitcnt lgkmcnt(0)
	v_add3_u32 v6, v0, v4, v5
	v_or_b32_e32 v0, 0x3800, v1
	global_atomic_add_x2 v0, v[6:7], s[26:27]
.LBB23_122:
	s_endpgm
	.section	.rodata,"a",@progbits
	.p2align	6, 0x0
	.amdhsa_kernel _ZN7rocprim17ROCPRIM_304000_NS6detail26onesweep_histograms_kernelINS1_34wrapped_radix_sort_onesweep_configINS0_14default_configElN2at4cuda3cub6detail10OpaqueTypeILi1EEEEELb0EPKlmNS0_19identity_decomposerEEEvT1_PT2_SG_SG_T3_jj
		.amdhsa_group_segment_fixed_size 32768
		.amdhsa_private_segment_fixed_size 0
		.amdhsa_kernarg_size 44
		.amdhsa_user_sgpr_count 6
		.amdhsa_user_sgpr_private_segment_buffer 1
		.amdhsa_user_sgpr_dispatch_ptr 0
		.amdhsa_user_sgpr_queue_ptr 0
		.amdhsa_user_sgpr_kernarg_segment_ptr 1
		.amdhsa_user_sgpr_dispatch_id 0
		.amdhsa_user_sgpr_flat_scratch_init 0
		.amdhsa_user_sgpr_kernarg_preload_length 0
		.amdhsa_user_sgpr_kernarg_preload_offset 0
		.amdhsa_user_sgpr_private_segment_size 0
		.amdhsa_uses_dynamic_stack 0
		.amdhsa_system_sgpr_private_segment_wavefront_offset 0
		.amdhsa_system_sgpr_workgroup_id_x 1
		.amdhsa_system_sgpr_workgroup_id_y 0
		.amdhsa_system_sgpr_workgroup_id_z 0
		.amdhsa_system_sgpr_workgroup_info 0
		.amdhsa_system_vgpr_workitem_id 0
		.amdhsa_next_free_vgpr 37
		.amdhsa_next_free_sgpr 39
		.amdhsa_accum_offset 40
		.amdhsa_reserve_vcc 1
		.amdhsa_reserve_flat_scratch 0
		.amdhsa_float_round_mode_32 0
		.amdhsa_float_round_mode_16_64 0
		.amdhsa_float_denorm_mode_32 3
		.amdhsa_float_denorm_mode_16_64 3
		.amdhsa_dx10_clamp 1
		.amdhsa_ieee_mode 1
		.amdhsa_fp16_overflow 0
		.amdhsa_tg_split 0
		.amdhsa_exception_fp_ieee_invalid_op 0
		.amdhsa_exception_fp_denorm_src 0
		.amdhsa_exception_fp_ieee_div_zero 0
		.amdhsa_exception_fp_ieee_overflow 0
		.amdhsa_exception_fp_ieee_underflow 0
		.amdhsa_exception_fp_ieee_inexact 0
		.amdhsa_exception_int_div_zero 0
	.end_amdhsa_kernel
	.section	.text._ZN7rocprim17ROCPRIM_304000_NS6detail26onesweep_histograms_kernelINS1_34wrapped_radix_sort_onesweep_configINS0_14default_configElN2at4cuda3cub6detail10OpaqueTypeILi1EEEEELb0EPKlmNS0_19identity_decomposerEEEvT1_PT2_SG_SG_T3_jj,"axG",@progbits,_ZN7rocprim17ROCPRIM_304000_NS6detail26onesweep_histograms_kernelINS1_34wrapped_radix_sort_onesweep_configINS0_14default_configElN2at4cuda3cub6detail10OpaqueTypeILi1EEEEELb0EPKlmNS0_19identity_decomposerEEEvT1_PT2_SG_SG_T3_jj,comdat
.Lfunc_end23:
	.size	_ZN7rocprim17ROCPRIM_304000_NS6detail26onesweep_histograms_kernelINS1_34wrapped_radix_sort_onesweep_configINS0_14default_configElN2at4cuda3cub6detail10OpaqueTypeILi1EEEEELb0EPKlmNS0_19identity_decomposerEEEvT1_PT2_SG_SG_T3_jj, .Lfunc_end23-_ZN7rocprim17ROCPRIM_304000_NS6detail26onesweep_histograms_kernelINS1_34wrapped_radix_sort_onesweep_configINS0_14default_configElN2at4cuda3cub6detail10OpaqueTypeILi1EEEEELb0EPKlmNS0_19identity_decomposerEEEvT1_PT2_SG_SG_T3_jj
                                        ; -- End function
	.section	.AMDGPU.csdata,"",@progbits
; Kernel info:
; codeLenInByte = 7024
; NumSgprs: 43
; NumVgprs: 37
; NumAgprs: 0
; TotalNumVgprs: 37
; ScratchSize: 0
; MemoryBound: 0
; FloatMode: 240
; IeeeMode: 1
; LDSByteSize: 32768 bytes/workgroup (compile time only)
; SGPRBlocks: 5
; VGPRBlocks: 4
; NumSGPRsForWavesPerEU: 43
; NumVGPRsForWavesPerEU: 37
; AccumOffset: 40
; Occupancy: 2
; WaveLimiterHint : 1
; COMPUTE_PGM_RSRC2:SCRATCH_EN: 0
; COMPUTE_PGM_RSRC2:USER_SGPR: 6
; COMPUTE_PGM_RSRC2:TRAP_HANDLER: 0
; COMPUTE_PGM_RSRC2:TGID_X_EN: 1
; COMPUTE_PGM_RSRC2:TGID_Y_EN: 0
; COMPUTE_PGM_RSRC2:TGID_Z_EN: 0
; COMPUTE_PGM_RSRC2:TIDIG_COMP_CNT: 0
; COMPUTE_PGM_RSRC3_GFX90A:ACCUM_OFFSET: 9
; COMPUTE_PGM_RSRC3_GFX90A:TG_SPLIT: 0
	.section	.text._ZN7rocprim17ROCPRIM_304000_NS6detail25onesweep_iteration_kernelINS1_34wrapped_radix_sort_onesweep_configINS0_14default_configElN2at4cuda3cub6detail10OpaqueTypeILi1EEEEELb0EPKlPlPKSA_PSA_mNS0_19identity_decomposerEEEvT1_T2_T3_T4_jPT5_SO_PNS1_23onesweep_lookback_stateET6_jjj,"axG",@progbits,_ZN7rocprim17ROCPRIM_304000_NS6detail25onesweep_iteration_kernelINS1_34wrapped_radix_sort_onesweep_configINS0_14default_configElN2at4cuda3cub6detail10OpaqueTypeILi1EEEEELb0EPKlPlPKSA_PSA_mNS0_19identity_decomposerEEEvT1_T2_T3_T4_jPT5_SO_PNS1_23onesweep_lookback_stateET6_jjj,comdat
	.protected	_ZN7rocprim17ROCPRIM_304000_NS6detail25onesweep_iteration_kernelINS1_34wrapped_radix_sort_onesweep_configINS0_14default_configElN2at4cuda3cub6detail10OpaqueTypeILi1EEEEELb0EPKlPlPKSA_PSA_mNS0_19identity_decomposerEEEvT1_T2_T3_T4_jPT5_SO_PNS1_23onesweep_lookback_stateET6_jjj ; -- Begin function _ZN7rocprim17ROCPRIM_304000_NS6detail25onesweep_iteration_kernelINS1_34wrapped_radix_sort_onesweep_configINS0_14default_configElN2at4cuda3cub6detail10OpaqueTypeILi1EEEEELb0EPKlPlPKSA_PSA_mNS0_19identity_decomposerEEEvT1_T2_T3_T4_jPT5_SO_PNS1_23onesweep_lookback_stateET6_jjj
	.globl	_ZN7rocprim17ROCPRIM_304000_NS6detail25onesweep_iteration_kernelINS1_34wrapped_radix_sort_onesweep_configINS0_14default_configElN2at4cuda3cub6detail10OpaqueTypeILi1EEEEELb0EPKlPlPKSA_PSA_mNS0_19identity_decomposerEEEvT1_T2_T3_T4_jPT5_SO_PNS1_23onesweep_lookback_stateET6_jjj
	.p2align	8
	.type	_ZN7rocprim17ROCPRIM_304000_NS6detail25onesweep_iteration_kernelINS1_34wrapped_radix_sort_onesweep_configINS0_14default_configElN2at4cuda3cub6detail10OpaqueTypeILi1EEEEELb0EPKlPlPKSA_PSA_mNS0_19identity_decomposerEEEvT1_T2_T3_T4_jPT5_SO_PNS1_23onesweep_lookback_stateET6_jjj,@function
_ZN7rocprim17ROCPRIM_304000_NS6detail25onesweep_iteration_kernelINS1_34wrapped_radix_sort_onesweep_configINS0_14default_configElN2at4cuda3cub6detail10OpaqueTypeILi1EEEEELb0EPKlPlPKSA_PSA_mNS0_19identity_decomposerEEEvT1_T2_T3_T4_jPT5_SO_PNS1_23onesweep_lookback_stateET6_jjj: ; @_ZN7rocprim17ROCPRIM_304000_NS6detail25onesweep_iteration_kernelINS1_34wrapped_radix_sort_onesweep_configINS0_14default_configElN2at4cuda3cub6detail10OpaqueTypeILi1EEEEELb0EPKlPlPKSA_PSA_mNS0_19identity_decomposerEEEvT1_T2_T3_T4_jPT5_SO_PNS1_23onesweep_lookback_stateET6_jjj
; %bb.0:
	s_load_dwordx4 s[68:71], s[4:5], 0x44
	s_load_dwordx8 s[56:63], s[4:5], 0x0
	s_load_dwordx4 s[64:67], s[4:5], 0x28
	s_load_dwordx2 s[72:73], s[4:5], 0x38
	s_mov_b32 s7, s6
	s_waitcnt lgkmcnt(0)
	s_cmp_ge_u32 s6, s70
	s_mul_i32 s54, s6, 0xc00
	v_mbcnt_lo_u32_b32 v1, -1, 0
	s_cbranch_scc0 .LBB24_129
; %bb.1:
	s_load_dword s2, s[4:5], 0x20
	s_mulk_i32 s70, 0xf400
	s_mov_b32 s55, 0
	s_lshl_b64 s[0:1], s[54:55], 3
	v_and_b32_e32 v2, 0x3ff, v0
	s_waitcnt lgkmcnt(0)
	s_add_i32 s70, s70, s2
	s_add_u32 s0, s56, s0
	v_mbcnt_hi_u32_b32 v32, -1, v1
	s_addc_u32 s1, s57, s1
	v_and_b32_e32 v3, 0xc0, v2
	v_lshlrev_b32_e32 v4, 3, v32
	v_mul_u32_u24_e32 v33, 12, v3
	v_mov_b32_e32 v5, s1
	v_add_co_u32_e32 v4, vcc, s0, v4
	s_mov_b32 s8, -1
	v_addc_co_u32_e32 v5, vcc, 0, v5, vcc
	v_lshlrev_b32_e32 v6, 3, v33
	s_brev_b32 s9, -2
	v_add_co_u32_e32 v4, vcc, v4, v6
	v_or_b32_e32 v28, v32, v33
	v_addc_co_u32_e32 v5, vcc, 0, v5, vcc
	v_cmp_gt_u32_e64 s[0:1], s70, v28
	v_pk_mov_b32 v[6:7], s[8:9], s[8:9] op_sel:[0,1]
	s_and_saveexec_b64 s[2:3], s[0:1]
	s_cbranch_execz .LBB24_3
; %bb.2:
	global_load_dwordx2 v[6:7], v[4:5], off
.LBB24_3:
	s_or_b64 exec, exec, s[2:3]
	v_add_u32_e32 v8, 64, v28
	v_cmp_gt_u32_e64 s[2:3], s70, v8
	v_pk_mov_b32 v[8:9], s[8:9], s[8:9] op_sel:[0,1]
	s_and_saveexec_b64 s[8:9], s[2:3]
	s_cbranch_execz .LBB24_5
; %bb.4:
	global_load_dwordx2 v[8:9], v[4:5], off offset:512
.LBB24_5:
	s_or_b64 exec, exec, s[8:9]
	s_mov_b32 s10, -1
	v_add_u32_e32 v10, 0x80, v28
	s_brev_b32 s11, -2
	v_cmp_gt_u32_e64 s[50:51], s70, v10
	v_pk_mov_b32 v[10:11], s[10:11], s[10:11] op_sel:[0,1]
	s_and_saveexec_b64 s[8:9], s[50:51]
	s_cbranch_execz .LBB24_7
; %bb.6:
	global_load_dwordx2 v[10:11], v[4:5], off offset:1024
.LBB24_7:
	s_or_b64 exec, exec, s[8:9]
	v_add_u32_e32 v12, 0xc0, v28
	v_cmp_gt_u32_e64 s[8:9], s70, v12
	v_pk_mov_b32 v[12:13], s[10:11], s[10:11] op_sel:[0,1]
	s_and_saveexec_b64 s[10:11], s[8:9]
	s_cbranch_execz .LBB24_9
; %bb.8:
	global_load_dwordx2 v[12:13], v[4:5], off offset:1536
.LBB24_9:
	s_or_b64 exec, exec, s[10:11]
	s_mov_b32 s14, -1
	v_add_u32_e32 v14, 0x100, v28
	s_brev_b32 s15, -2
	v_cmp_gt_u32_e64 s[10:11], s70, v14
	v_pk_mov_b32 v[14:15], s[14:15], s[14:15] op_sel:[0,1]
	s_and_saveexec_b64 s[12:13], s[10:11]
	s_cbranch_execz .LBB24_11
; %bb.10:
	global_load_dwordx2 v[14:15], v[4:5], off offset:2048
.LBB24_11:
	;; [unrolled: 20-line block ×3, first 2 shown]
	s_or_b64 exec, exec, s[16:17]
	v_add_u32_e32 v20, 0x1c0, v28
	v_cmp_gt_u32_e64 s[16:17], s70, v20
	v_pk_mov_b32 v[20:21], s[18:19], s[18:19] op_sel:[0,1]
	s_and_saveexec_b64 s[18:19], s[16:17]
	s_cbranch_execz .LBB24_17
; %bb.16:
	global_load_dwordx2 v[20:21], v[4:5], off offset:3584
.LBB24_17:
	s_or_b64 exec, exec, s[18:19]
	s_mov_b32 s22, -1
	v_add_u32_e32 v22, 0x200, v28
	s_brev_b32 s23, -2
	v_cmp_gt_u32_e64 s[18:19], s70, v22
	v_pk_mov_b32 v[22:23], s[22:23], s[22:23] op_sel:[0,1]
	s_and_saveexec_b64 s[20:21], s[18:19]
	s_cbranch_execz .LBB24_19
; %bb.18:
	v_add_co_u32_e32 v22, vcc, 0x1000, v4
	v_addc_co_u32_e32 v23, vcc, 0, v5, vcc
	global_load_dwordx2 v[22:23], v[22:23], off
.LBB24_19:
	s_or_b64 exec, exec, s[20:21]
	v_add_u32_e32 v24, 0x240, v28
	v_cmp_gt_u32_e64 s[20:21], s70, v24
	v_pk_mov_b32 v[24:25], s[22:23], s[22:23] op_sel:[0,1]
	s_and_saveexec_b64 s[22:23], s[20:21]
	s_cbranch_execz .LBB24_21
; %bb.20:
	v_add_co_u32_e32 v24, vcc, 0x1000, v4
	v_addc_co_u32_e32 v25, vcc, 0, v5, vcc
	global_load_dwordx2 v[24:25], v[24:25], off offset:512
.LBB24_21:
	s_or_b64 exec, exec, s[22:23]
	s_mov_b32 s26, -1
	v_add_u32_e32 v26, 0x280, v28
	s_brev_b32 s27, -2
	v_cmp_gt_u32_e64 s[22:23], s70, v26
	v_pk_mov_b32 v[26:27], s[26:27], s[26:27] op_sel:[0,1]
	s_and_saveexec_b64 s[24:25], s[22:23]
	s_cbranch_execz .LBB24_23
; %bb.22:
	v_add_co_u32_e32 v26, vcc, 0x1000, v4
	v_addc_co_u32_e32 v27, vcc, 0, v5, vcc
	global_load_dwordx2 v[26:27], v[26:27], off offset:1024
.LBB24_23:
	s_or_b64 exec, exec, s[24:25]
	v_add_u32_e32 v28, 0x2c0, v28
	v_cmp_gt_u32_e64 s[24:25], s70, v28
	v_pk_mov_b32 v[28:29], s[26:27], s[26:27] op_sel:[0,1]
	s_and_saveexec_b64 s[26:27], s[24:25]
	s_cbranch_execz .LBB24_25
; %bb.24:
	v_add_co_u32_e32 v4, vcc, 0x1000, v4
	v_addc_co_u32_e32 v5, vcc, 0, v5, vcc
	global_load_dwordx2 v[28:29], v[4:5], off offset:1536
.LBB24_25:
	s_or_b64 exec, exec, s[26:27]
	s_load_dword s26, s[4:5], 0x5c
	s_load_dword s33, s[4:5], 0x50
	s_add_u32 s27, s4, 0x50
	s_addc_u32 s28, s5, 0
	v_mov_b32_e32 v4, 0
	s_waitcnt lgkmcnt(0)
	s_lshr_b32 s29, s26, 16
	s_cmp_lt_u32 s6, s33
	s_cselect_b32 s26, 12, 18
	s_add_u32 s26, s27, s26
	s_addc_u32 s27, s28, 0
	global_load_ushort v35, v4, s[26:27]
	s_waitcnt vmcnt(1)
	v_xor_b32_e32 v7, 0x80000000, v7
	v_mul_u32_u24_e32 v30, 5, v2
	s_lshl_b32 s26, -1, s69
	v_lshlrev_b32_e32 v34, 2, v30
	v_lshrrev_b64 v[30:31], s68, v[6:7]
	s_not_b32 s55, s26
	v_and_b32_e32 v30, s55, v30
	v_and_b32_e32 v37, 1, v30
	v_bfe_u32 v5, v0, 10, 10
	v_bfe_u32 v36, v0, 20, 10
	v_add_co_u32_e32 v38, vcc, -1, v37
	v_mad_u32_u24 v31, v36, s29, v5
	v_lshlrev_b32_e32 v5, 30, v30
	v_addc_co_u32_e64 v39, s[26:27], 0, -1, vcc
	v_cmp_ne_u32_e32 vcc, 0, v37
	v_cmp_gt_i64_e64 s[26:27], 0, v[4:5]
	v_not_b32_e32 v37, v5
	v_lshlrev_b32_e32 v5, 29, v30
	v_xor_b32_e32 v39, vcc_hi, v39
	v_xor_b32_e32 v38, vcc_lo, v38
	v_ashrrev_i32_e32 v37, 31, v37
	v_cmp_gt_i64_e32 vcc, 0, v[4:5]
	v_not_b32_e32 v40, v5
	v_lshlrev_b32_e32 v5, 28, v30
	v_and_b32_e32 v39, exec_hi, v39
	v_and_b32_e32 v38, exec_lo, v38
	v_xor_b32_e32 v41, s27, v37
	v_xor_b32_e32 v37, s26, v37
	v_ashrrev_i32_e32 v40, 31, v40
	v_cmp_gt_i64_e64 s[26:27], 0, v[4:5]
	v_not_b32_e32 v42, v5
	v_lshlrev_b32_e32 v5, 27, v30
	v_and_b32_e32 v39, v39, v41
	v_and_b32_e32 v37, v38, v37
	v_xor_b32_e32 v38, vcc_hi, v40
	v_xor_b32_e32 v40, vcc_lo, v40
	v_ashrrev_i32_e32 v41, 31, v42
	v_cmp_gt_i64_e32 vcc, 0, v[4:5]
	v_not_b32_e32 v42, v5
	v_lshlrev_b32_e32 v5, 26, v30
	v_and_b32_e32 v38, v39, v38
	v_and_b32_e32 v37, v37, v40
	v_xor_b32_e32 v39, s27, v41
	v_xor_b32_e32 v40, s26, v41
	v_ashrrev_i32_e32 v41, 31, v42
	v_cmp_gt_i64_e64 s[26:27], 0, v[4:5]
	v_not_b32_e32 v42, v5
	v_lshlrev_b32_e32 v5, 25, v30
	v_and_b32_e32 v38, v38, v39
	v_and_b32_e32 v37, v37, v40
	v_xor_b32_e32 v39, vcc_hi, v41
	v_xor_b32_e32 v40, vcc_lo, v41
	v_ashrrev_i32_e32 v41, 31, v42
	v_not_b32_e32 v42, v5
	v_lshl_add_u32 v36, v30, 2, v30
	v_cmp_gt_i64_e32 vcc, 0, v[4:5]
	v_lshlrev_b32_e32 v5, 24, v30
	v_and_b32_e32 v30, v38, v39
	v_and_b32_e32 v37, v37, v40
	v_xor_b32_e32 v38, s27, v41
	v_ashrrev_i32_e32 v40, 31, v42
	v_xor_b32_e32 v39, s26, v41
	v_cmp_gt_i64_e64 s[26:27], 0, v[4:5]
	v_not_b32_e32 v5, v5
	v_and_b32_e32 v30, v30, v38
	v_xor_b32_e32 v38, vcc_hi, v40
	v_and_b32_e32 v37, v37, v39
	v_xor_b32_e32 v39, vcc_lo, v40
	v_and_b32_e32 v38, v30, v38
	v_ashrrev_i32_e32 v5, 31, v5
	v_and_b32_e32 v37, v37, v39
	ds_write2_b32 v34, v4, v4 offset0:4 offset1:5
	ds_write2_b32 v34, v4, v4 offset0:6 offset1:7
	ds_write_b32 v34, v4 offset:32
	s_waitcnt lgkmcnt(0)
	s_barrier
	s_waitcnt lgkmcnt(0)
	; wave barrier
	s_waitcnt vmcnt(0)
	v_mad_u64_u32 v[30:31], s[28:29], v31, v35, v[2:3]
	v_lshrrev_b32_e32 v43, 6, v30
	v_xor_b32_e32 v30, s27, v5
	v_xor_b32_e32 v5, s26, v5
	v_and_b32_e32 v31, v38, v30
	v_and_b32_e32 v30, v37, v5
	v_mbcnt_lo_u32_b32 v5, v30, 0
	v_mbcnt_hi_u32_b32 v35, v31, v5
	v_cmp_eq_u32_e32 vcc, 0, v35
	v_cmp_ne_u64_e64 s[26:27], 0, v[30:31]
	v_add_lshl_u32 v36, v43, v36, 2
	s_and_b64 s[28:29], s[26:27], vcc
	s_and_saveexec_b64 s[26:27], s[28:29]
	s_cbranch_execz .LBB24_27
; %bb.26:
	v_bcnt_u32_b32 v5, v30, 0
	v_bcnt_u32_b32 v5, v31, v5
	ds_write_b32 v36, v5 offset:16
.LBB24_27:
	s_or_b64 exec, exec, s[26:27]
	v_xor_b32_e32 v9, 0x80000000, v9
	v_lshrrev_b64 v[30:31], s68, v[8:9]
	v_and_b32_e32 v30, s55, v30
	v_lshl_add_u32 v5, v30, 2, v30
	v_add_lshl_u32 v38, v43, v5, 2
	v_and_b32_e32 v5, 1, v30
	v_add_co_u32_e32 v31, vcc, -1, v5
	v_addc_co_u32_e64 v39, s[26:27], 0, -1, vcc
	v_cmp_ne_u32_e32 vcc, 0, v5
	v_xor_b32_e32 v5, vcc_hi, v39
	v_and_b32_e32 v39, exec_hi, v5
	v_lshlrev_b32_e32 v5, 30, v30
	v_xor_b32_e32 v31, vcc_lo, v31
	v_cmp_gt_i64_e32 vcc, 0, v[4:5]
	v_not_b32_e32 v5, v5
	v_ashrrev_i32_e32 v5, 31, v5
	v_and_b32_e32 v31, exec_lo, v31
	v_xor_b32_e32 v40, vcc_hi, v5
	v_xor_b32_e32 v5, vcc_lo, v5
	v_and_b32_e32 v31, v31, v5
	v_lshlrev_b32_e32 v5, 29, v30
	v_cmp_gt_i64_e32 vcc, 0, v[4:5]
	v_not_b32_e32 v5, v5
	v_ashrrev_i32_e32 v5, 31, v5
	v_and_b32_e32 v39, v39, v40
	v_xor_b32_e32 v40, vcc_hi, v5
	v_xor_b32_e32 v5, vcc_lo, v5
	v_and_b32_e32 v31, v31, v5
	v_lshlrev_b32_e32 v5, 28, v30
	v_cmp_gt_i64_e32 vcc, 0, v[4:5]
	v_not_b32_e32 v5, v5
	v_ashrrev_i32_e32 v5, 31, v5
	v_and_b32_e32 v39, v39, v40
	;; [unrolled: 8-line block ×5, first 2 shown]
	v_xor_b32_e32 v40, vcc_hi, v5
	v_xor_b32_e32 v5, vcc_lo, v5
	v_and_b32_e32 v31, v31, v5
	v_lshlrev_b32_e32 v5, 24, v30
	v_cmp_gt_i64_e32 vcc, 0, v[4:5]
	v_not_b32_e32 v4, v5
	v_ashrrev_i32_e32 v4, 31, v4
	v_xor_b32_e32 v5, vcc_hi, v4
	v_xor_b32_e32 v4, vcc_lo, v4
	; wave barrier
	ds_read_b32 v37, v38 offset:16
	v_and_b32_e32 v39, v39, v40
	v_and_b32_e32 v4, v31, v4
	v_and_b32_e32 v5, v39, v5
	v_mbcnt_lo_u32_b32 v30, v4, 0
	v_mbcnt_hi_u32_b32 v39, v5, v30
	v_cmp_eq_u32_e32 vcc, 0, v39
	v_cmp_ne_u64_e64 s[26:27], 0, v[4:5]
	s_and_b64 s[28:29], s[26:27], vcc
	; wave barrier
	s_and_saveexec_b64 s[26:27], s[28:29]
	s_cbranch_execz .LBB24_29
; %bb.28:
	v_bcnt_u32_b32 v4, v4, 0
	v_bcnt_u32_b32 v4, v5, v4
	s_waitcnt lgkmcnt(0)
	v_add_u32_e32 v4, v37, v4
	ds_write_b32 v38, v4 offset:16
.LBB24_29:
	s_or_b64 exec, exec, s[26:27]
	v_xor_b32_e32 v11, 0x80000000, v11
	v_lshrrev_b64 v[4:5], s68, v[10:11]
	v_and_b32_e32 v30, s55, v4
	v_and_b32_e32 v5, 1, v30
	v_add_co_u32_e32 v31, vcc, -1, v5
	v_addc_co_u32_e64 v42, s[26:27], 0, -1, vcc
	v_cmp_ne_u32_e32 vcc, 0, v5
	v_lshl_add_u32 v4, v30, 2, v30
	v_xor_b32_e32 v5, vcc_hi, v42
	v_add_lshl_u32 v41, v43, v4, 2
	v_mov_b32_e32 v4, 0
	v_and_b32_e32 v42, exec_hi, v5
	v_lshlrev_b32_e32 v5, 30, v30
	v_xor_b32_e32 v31, vcc_lo, v31
	v_cmp_gt_i64_e32 vcc, 0, v[4:5]
	v_not_b32_e32 v5, v5
	v_ashrrev_i32_e32 v5, 31, v5
	v_and_b32_e32 v31, exec_lo, v31
	v_xor_b32_e32 v44, vcc_hi, v5
	v_xor_b32_e32 v5, vcc_lo, v5
	v_and_b32_e32 v31, v31, v5
	v_lshlrev_b32_e32 v5, 29, v30
	v_cmp_gt_i64_e32 vcc, 0, v[4:5]
	v_not_b32_e32 v5, v5
	v_ashrrev_i32_e32 v5, 31, v5
	v_and_b32_e32 v42, v42, v44
	v_xor_b32_e32 v44, vcc_hi, v5
	v_xor_b32_e32 v5, vcc_lo, v5
	v_and_b32_e32 v31, v31, v5
	v_lshlrev_b32_e32 v5, 28, v30
	v_cmp_gt_i64_e32 vcc, 0, v[4:5]
	v_not_b32_e32 v5, v5
	v_ashrrev_i32_e32 v5, 31, v5
	v_and_b32_e32 v42, v42, v44
	;; [unrolled: 8-line block ×5, first 2 shown]
	v_xor_b32_e32 v44, vcc_hi, v5
	v_xor_b32_e32 v5, vcc_lo, v5
	v_and_b32_e32 v42, v42, v44
	v_and_b32_e32 v44, v31, v5
	v_lshlrev_b32_e32 v5, 24, v30
	v_cmp_gt_i64_e32 vcc, 0, v[4:5]
	v_not_b32_e32 v5, v5
	v_ashrrev_i32_e32 v5, 31, v5
	v_xor_b32_e32 v30, vcc_hi, v5
	v_xor_b32_e32 v5, vcc_lo, v5
	; wave barrier
	ds_read_b32 v40, v41 offset:16
	v_and_b32_e32 v31, v42, v30
	v_and_b32_e32 v30, v44, v5
	v_mbcnt_lo_u32_b32 v5, v30, 0
	v_mbcnt_hi_u32_b32 v42, v31, v5
	v_cmp_eq_u32_e32 vcc, 0, v42
	v_cmp_ne_u64_e64 s[26:27], 0, v[30:31]
	s_and_b64 s[28:29], s[26:27], vcc
	; wave barrier
	s_and_saveexec_b64 s[26:27], s[28:29]
	s_cbranch_execz .LBB24_31
; %bb.30:
	v_bcnt_u32_b32 v5, v30, 0
	v_bcnt_u32_b32 v5, v31, v5
	s_waitcnt lgkmcnt(0)
	v_add_u32_e32 v5, v40, v5
	ds_write_b32 v41, v5 offset:16
.LBB24_31:
	s_or_b64 exec, exec, s[26:27]
	v_xor_b32_e32 v13, 0x80000000, v13
	v_lshrrev_b64 v[30:31], s68, v[12:13]
	v_and_b32_e32 v30, s55, v30
	v_lshl_add_u32 v5, v30, 2, v30
	v_add_lshl_u32 v45, v43, v5, 2
	v_and_b32_e32 v5, 1, v30
	v_add_co_u32_e32 v31, vcc, -1, v5
	v_addc_co_u32_e64 v46, s[26:27], 0, -1, vcc
	v_cmp_ne_u32_e32 vcc, 0, v5
	v_xor_b32_e32 v5, vcc_hi, v46
	v_and_b32_e32 v46, exec_hi, v5
	v_lshlrev_b32_e32 v5, 30, v30
	v_xor_b32_e32 v31, vcc_lo, v31
	v_cmp_gt_i64_e32 vcc, 0, v[4:5]
	v_not_b32_e32 v5, v5
	v_ashrrev_i32_e32 v5, 31, v5
	v_and_b32_e32 v31, exec_lo, v31
	v_xor_b32_e32 v47, vcc_hi, v5
	v_xor_b32_e32 v5, vcc_lo, v5
	v_and_b32_e32 v31, v31, v5
	v_lshlrev_b32_e32 v5, 29, v30
	v_cmp_gt_i64_e32 vcc, 0, v[4:5]
	v_not_b32_e32 v5, v5
	v_ashrrev_i32_e32 v5, 31, v5
	v_and_b32_e32 v46, v46, v47
	v_xor_b32_e32 v47, vcc_hi, v5
	v_xor_b32_e32 v5, vcc_lo, v5
	v_and_b32_e32 v31, v31, v5
	v_lshlrev_b32_e32 v5, 28, v30
	v_cmp_gt_i64_e32 vcc, 0, v[4:5]
	v_not_b32_e32 v5, v5
	v_ashrrev_i32_e32 v5, 31, v5
	v_and_b32_e32 v46, v46, v47
	;; [unrolled: 8-line block ×5, first 2 shown]
	v_xor_b32_e32 v47, vcc_hi, v5
	v_xor_b32_e32 v5, vcc_lo, v5
	v_and_b32_e32 v31, v31, v5
	v_lshlrev_b32_e32 v5, 24, v30
	v_cmp_gt_i64_e32 vcc, 0, v[4:5]
	v_not_b32_e32 v4, v5
	v_ashrrev_i32_e32 v4, 31, v4
	v_xor_b32_e32 v5, vcc_hi, v4
	v_xor_b32_e32 v4, vcc_lo, v4
	; wave barrier
	ds_read_b32 v44, v45 offset:16
	v_and_b32_e32 v46, v46, v47
	v_and_b32_e32 v4, v31, v4
	;; [unrolled: 1-line block ×3, first 2 shown]
	v_mbcnt_lo_u32_b32 v30, v4, 0
	v_mbcnt_hi_u32_b32 v46, v5, v30
	v_cmp_eq_u32_e32 vcc, 0, v46
	v_cmp_ne_u64_e64 s[26:27], 0, v[4:5]
	s_and_b64 s[28:29], s[26:27], vcc
	; wave barrier
	s_and_saveexec_b64 s[26:27], s[28:29]
	s_cbranch_execz .LBB24_33
; %bb.32:
	v_bcnt_u32_b32 v4, v4, 0
	v_bcnt_u32_b32 v4, v5, v4
	s_waitcnt lgkmcnt(0)
	v_add_u32_e32 v4, v44, v4
	ds_write_b32 v45, v4 offset:16
.LBB24_33:
	s_or_b64 exec, exec, s[26:27]
	v_xor_b32_e32 v15, 0x80000000, v15
	v_lshrrev_b64 v[4:5], s68, v[14:15]
	v_and_b32_e32 v30, s55, v4
	v_and_b32_e32 v5, 1, v30
	v_add_co_u32_e32 v31, vcc, -1, v5
	v_addc_co_u32_e64 v49, s[26:27], 0, -1, vcc
	v_cmp_ne_u32_e32 vcc, 0, v5
	v_lshl_add_u32 v4, v30, 2, v30
	v_xor_b32_e32 v5, vcc_hi, v49
	v_add_lshl_u32 v48, v43, v4, 2
	v_mov_b32_e32 v4, 0
	v_and_b32_e32 v49, exec_hi, v5
	v_lshlrev_b32_e32 v5, 30, v30
	v_xor_b32_e32 v31, vcc_lo, v31
	v_cmp_gt_i64_e32 vcc, 0, v[4:5]
	v_not_b32_e32 v5, v5
	v_ashrrev_i32_e32 v5, 31, v5
	v_and_b32_e32 v31, exec_lo, v31
	v_xor_b32_e32 v50, vcc_hi, v5
	v_xor_b32_e32 v5, vcc_lo, v5
	v_and_b32_e32 v31, v31, v5
	v_lshlrev_b32_e32 v5, 29, v30
	v_cmp_gt_i64_e32 vcc, 0, v[4:5]
	v_not_b32_e32 v5, v5
	v_ashrrev_i32_e32 v5, 31, v5
	v_and_b32_e32 v49, v49, v50
	v_xor_b32_e32 v50, vcc_hi, v5
	v_xor_b32_e32 v5, vcc_lo, v5
	v_and_b32_e32 v31, v31, v5
	v_lshlrev_b32_e32 v5, 28, v30
	v_cmp_gt_i64_e32 vcc, 0, v[4:5]
	v_not_b32_e32 v5, v5
	v_ashrrev_i32_e32 v5, 31, v5
	v_and_b32_e32 v49, v49, v50
	;; [unrolled: 8-line block ×5, first 2 shown]
	v_xor_b32_e32 v50, vcc_hi, v5
	v_xor_b32_e32 v5, vcc_lo, v5
	v_and_b32_e32 v49, v49, v50
	v_and_b32_e32 v50, v31, v5
	v_lshlrev_b32_e32 v5, 24, v30
	v_cmp_gt_i64_e32 vcc, 0, v[4:5]
	v_not_b32_e32 v5, v5
	v_ashrrev_i32_e32 v5, 31, v5
	v_xor_b32_e32 v30, vcc_hi, v5
	v_xor_b32_e32 v5, vcc_lo, v5
	; wave barrier
	ds_read_b32 v47, v48 offset:16
	v_and_b32_e32 v31, v49, v30
	v_and_b32_e32 v30, v50, v5
	v_mbcnt_lo_u32_b32 v5, v30, 0
	v_mbcnt_hi_u32_b32 v49, v31, v5
	v_cmp_eq_u32_e32 vcc, 0, v49
	v_cmp_ne_u64_e64 s[26:27], 0, v[30:31]
	s_and_b64 s[28:29], s[26:27], vcc
	; wave barrier
	s_and_saveexec_b64 s[26:27], s[28:29]
	s_cbranch_execz .LBB24_35
; %bb.34:
	v_bcnt_u32_b32 v5, v30, 0
	v_bcnt_u32_b32 v5, v31, v5
	s_waitcnt lgkmcnt(0)
	v_add_u32_e32 v5, v47, v5
	ds_write_b32 v48, v5 offset:16
.LBB24_35:
	s_or_b64 exec, exec, s[26:27]
	v_xor_b32_e32 v17, 0x80000000, v17
	v_lshrrev_b64 v[30:31], s68, v[16:17]
	v_and_b32_e32 v30, s55, v30
	v_lshl_add_u32 v5, v30, 2, v30
	v_add_lshl_u32 v51, v43, v5, 2
	v_and_b32_e32 v5, 1, v30
	v_add_co_u32_e32 v31, vcc, -1, v5
	v_addc_co_u32_e64 v52, s[26:27], 0, -1, vcc
	v_cmp_ne_u32_e32 vcc, 0, v5
	v_xor_b32_e32 v5, vcc_hi, v52
	v_and_b32_e32 v52, exec_hi, v5
	v_lshlrev_b32_e32 v5, 30, v30
	v_xor_b32_e32 v31, vcc_lo, v31
	v_cmp_gt_i64_e32 vcc, 0, v[4:5]
	v_not_b32_e32 v5, v5
	v_ashrrev_i32_e32 v5, 31, v5
	v_and_b32_e32 v31, exec_lo, v31
	v_xor_b32_e32 v53, vcc_hi, v5
	v_xor_b32_e32 v5, vcc_lo, v5
	v_and_b32_e32 v31, v31, v5
	v_lshlrev_b32_e32 v5, 29, v30
	v_cmp_gt_i64_e32 vcc, 0, v[4:5]
	v_not_b32_e32 v5, v5
	v_ashrrev_i32_e32 v5, 31, v5
	v_and_b32_e32 v52, v52, v53
	v_xor_b32_e32 v53, vcc_hi, v5
	v_xor_b32_e32 v5, vcc_lo, v5
	v_and_b32_e32 v31, v31, v5
	v_lshlrev_b32_e32 v5, 28, v30
	v_cmp_gt_i64_e32 vcc, 0, v[4:5]
	v_not_b32_e32 v5, v5
	v_ashrrev_i32_e32 v5, 31, v5
	v_and_b32_e32 v52, v52, v53
	;; [unrolled: 8-line block ×5, first 2 shown]
	v_xor_b32_e32 v53, vcc_hi, v5
	v_xor_b32_e32 v5, vcc_lo, v5
	v_and_b32_e32 v31, v31, v5
	v_lshlrev_b32_e32 v5, 24, v30
	v_cmp_gt_i64_e32 vcc, 0, v[4:5]
	v_not_b32_e32 v4, v5
	v_ashrrev_i32_e32 v4, 31, v4
	v_xor_b32_e32 v5, vcc_hi, v4
	v_xor_b32_e32 v4, vcc_lo, v4
	; wave barrier
	ds_read_b32 v50, v51 offset:16
	v_and_b32_e32 v52, v52, v53
	v_and_b32_e32 v4, v31, v4
	;; [unrolled: 1-line block ×3, first 2 shown]
	v_mbcnt_lo_u32_b32 v30, v4, 0
	v_mbcnt_hi_u32_b32 v52, v5, v30
	v_cmp_eq_u32_e32 vcc, 0, v52
	v_cmp_ne_u64_e64 s[26:27], 0, v[4:5]
	s_and_b64 s[28:29], s[26:27], vcc
	; wave barrier
	s_and_saveexec_b64 s[26:27], s[28:29]
	s_cbranch_execz .LBB24_37
; %bb.36:
	v_bcnt_u32_b32 v4, v4, 0
	v_bcnt_u32_b32 v4, v5, v4
	s_waitcnt lgkmcnt(0)
	v_add_u32_e32 v4, v50, v4
	ds_write_b32 v51, v4 offset:16
.LBB24_37:
	s_or_b64 exec, exec, s[26:27]
	v_xor_b32_e32 v19, 0x80000000, v19
	v_lshrrev_b64 v[4:5], s68, v[18:19]
	v_and_b32_e32 v30, s55, v4
	v_and_b32_e32 v5, 1, v30
	v_add_co_u32_e32 v31, vcc, -1, v5
	v_addc_co_u32_e64 v55, s[26:27], 0, -1, vcc
	v_cmp_ne_u32_e32 vcc, 0, v5
	v_lshl_add_u32 v4, v30, 2, v30
	v_xor_b32_e32 v5, vcc_hi, v55
	v_add_lshl_u32 v54, v43, v4, 2
	v_mov_b32_e32 v4, 0
	v_and_b32_e32 v55, exec_hi, v5
	v_lshlrev_b32_e32 v5, 30, v30
	v_xor_b32_e32 v31, vcc_lo, v31
	v_cmp_gt_i64_e32 vcc, 0, v[4:5]
	v_not_b32_e32 v5, v5
	v_ashrrev_i32_e32 v5, 31, v5
	v_and_b32_e32 v31, exec_lo, v31
	v_xor_b32_e32 v56, vcc_hi, v5
	v_xor_b32_e32 v5, vcc_lo, v5
	v_and_b32_e32 v31, v31, v5
	v_lshlrev_b32_e32 v5, 29, v30
	v_cmp_gt_i64_e32 vcc, 0, v[4:5]
	v_not_b32_e32 v5, v5
	v_ashrrev_i32_e32 v5, 31, v5
	v_and_b32_e32 v55, v55, v56
	v_xor_b32_e32 v56, vcc_hi, v5
	v_xor_b32_e32 v5, vcc_lo, v5
	v_and_b32_e32 v31, v31, v5
	v_lshlrev_b32_e32 v5, 28, v30
	v_cmp_gt_i64_e32 vcc, 0, v[4:5]
	v_not_b32_e32 v5, v5
	v_ashrrev_i32_e32 v5, 31, v5
	v_and_b32_e32 v55, v55, v56
	;; [unrolled: 8-line block ×5, first 2 shown]
	v_xor_b32_e32 v56, vcc_hi, v5
	v_xor_b32_e32 v5, vcc_lo, v5
	v_and_b32_e32 v55, v55, v56
	v_and_b32_e32 v56, v31, v5
	v_lshlrev_b32_e32 v5, 24, v30
	v_cmp_gt_i64_e32 vcc, 0, v[4:5]
	v_not_b32_e32 v5, v5
	v_ashrrev_i32_e32 v5, 31, v5
	v_xor_b32_e32 v30, vcc_hi, v5
	v_xor_b32_e32 v5, vcc_lo, v5
	; wave barrier
	ds_read_b32 v53, v54 offset:16
	v_and_b32_e32 v31, v55, v30
	v_and_b32_e32 v30, v56, v5
	v_mbcnt_lo_u32_b32 v5, v30, 0
	v_mbcnt_hi_u32_b32 v55, v31, v5
	v_cmp_eq_u32_e32 vcc, 0, v55
	v_cmp_ne_u64_e64 s[26:27], 0, v[30:31]
	s_and_b64 s[28:29], s[26:27], vcc
	; wave barrier
	s_and_saveexec_b64 s[26:27], s[28:29]
	s_cbranch_execz .LBB24_39
; %bb.38:
	v_bcnt_u32_b32 v5, v30, 0
	v_bcnt_u32_b32 v5, v31, v5
	s_waitcnt lgkmcnt(0)
	v_add_u32_e32 v5, v53, v5
	ds_write_b32 v54, v5 offset:16
.LBB24_39:
	s_or_b64 exec, exec, s[26:27]
	v_xor_b32_e32 v21, 0x80000000, v21
	v_lshrrev_b64 v[30:31], s68, v[20:21]
	v_and_b32_e32 v30, s55, v30
	v_lshl_add_u32 v5, v30, 2, v30
	v_add_lshl_u32 v57, v43, v5, 2
	v_and_b32_e32 v5, 1, v30
	v_add_co_u32_e32 v31, vcc, -1, v5
	v_addc_co_u32_e64 v58, s[26:27], 0, -1, vcc
	v_cmp_ne_u32_e32 vcc, 0, v5
	v_xor_b32_e32 v5, vcc_hi, v58
	v_and_b32_e32 v58, exec_hi, v5
	v_lshlrev_b32_e32 v5, 30, v30
	v_xor_b32_e32 v31, vcc_lo, v31
	v_cmp_gt_i64_e32 vcc, 0, v[4:5]
	v_not_b32_e32 v5, v5
	v_ashrrev_i32_e32 v5, 31, v5
	v_and_b32_e32 v31, exec_lo, v31
	v_xor_b32_e32 v59, vcc_hi, v5
	v_xor_b32_e32 v5, vcc_lo, v5
	v_and_b32_e32 v31, v31, v5
	v_lshlrev_b32_e32 v5, 29, v30
	v_cmp_gt_i64_e32 vcc, 0, v[4:5]
	v_not_b32_e32 v5, v5
	v_ashrrev_i32_e32 v5, 31, v5
	v_and_b32_e32 v58, v58, v59
	v_xor_b32_e32 v59, vcc_hi, v5
	v_xor_b32_e32 v5, vcc_lo, v5
	v_and_b32_e32 v31, v31, v5
	v_lshlrev_b32_e32 v5, 28, v30
	v_cmp_gt_i64_e32 vcc, 0, v[4:5]
	v_not_b32_e32 v5, v5
	v_ashrrev_i32_e32 v5, 31, v5
	v_and_b32_e32 v58, v58, v59
	;; [unrolled: 8-line block ×5, first 2 shown]
	v_xor_b32_e32 v59, vcc_hi, v5
	v_xor_b32_e32 v5, vcc_lo, v5
	v_and_b32_e32 v31, v31, v5
	v_lshlrev_b32_e32 v5, 24, v30
	v_cmp_gt_i64_e32 vcc, 0, v[4:5]
	v_not_b32_e32 v4, v5
	v_ashrrev_i32_e32 v4, 31, v4
	v_xor_b32_e32 v5, vcc_hi, v4
	v_xor_b32_e32 v4, vcc_lo, v4
	; wave barrier
	ds_read_b32 v56, v57 offset:16
	v_and_b32_e32 v58, v58, v59
	v_and_b32_e32 v4, v31, v4
	;; [unrolled: 1-line block ×3, first 2 shown]
	v_mbcnt_lo_u32_b32 v30, v4, 0
	v_mbcnt_hi_u32_b32 v58, v5, v30
	v_cmp_eq_u32_e32 vcc, 0, v58
	v_cmp_ne_u64_e64 s[26:27], 0, v[4:5]
	s_and_b64 s[28:29], s[26:27], vcc
	; wave barrier
	s_and_saveexec_b64 s[26:27], s[28:29]
	s_cbranch_execz .LBB24_41
; %bb.40:
	v_bcnt_u32_b32 v4, v4, 0
	v_bcnt_u32_b32 v4, v5, v4
	s_waitcnt lgkmcnt(0)
	v_add_u32_e32 v4, v56, v4
	ds_write_b32 v57, v4 offset:16
.LBB24_41:
	s_or_b64 exec, exec, s[26:27]
	v_xor_b32_e32 v23, 0x80000000, v23
	v_lshrrev_b64 v[4:5], s68, v[22:23]
	v_and_b32_e32 v30, s55, v4
	v_and_b32_e32 v5, 1, v30
	v_add_co_u32_e32 v31, vcc, -1, v5
	v_addc_co_u32_e64 v61, s[26:27], 0, -1, vcc
	v_cmp_ne_u32_e32 vcc, 0, v5
	v_lshl_add_u32 v4, v30, 2, v30
	v_xor_b32_e32 v5, vcc_hi, v61
	v_add_lshl_u32 v60, v43, v4, 2
	v_mov_b32_e32 v4, 0
	v_and_b32_e32 v61, exec_hi, v5
	v_lshlrev_b32_e32 v5, 30, v30
	v_xor_b32_e32 v31, vcc_lo, v31
	v_cmp_gt_i64_e32 vcc, 0, v[4:5]
	v_not_b32_e32 v5, v5
	v_ashrrev_i32_e32 v5, 31, v5
	v_and_b32_e32 v31, exec_lo, v31
	v_xor_b32_e32 v62, vcc_hi, v5
	v_xor_b32_e32 v5, vcc_lo, v5
	v_and_b32_e32 v31, v31, v5
	v_lshlrev_b32_e32 v5, 29, v30
	v_cmp_gt_i64_e32 vcc, 0, v[4:5]
	v_not_b32_e32 v5, v5
	v_ashrrev_i32_e32 v5, 31, v5
	v_and_b32_e32 v61, v61, v62
	v_xor_b32_e32 v62, vcc_hi, v5
	v_xor_b32_e32 v5, vcc_lo, v5
	v_and_b32_e32 v31, v31, v5
	v_lshlrev_b32_e32 v5, 28, v30
	v_cmp_gt_i64_e32 vcc, 0, v[4:5]
	v_not_b32_e32 v5, v5
	v_ashrrev_i32_e32 v5, 31, v5
	v_and_b32_e32 v61, v61, v62
	;; [unrolled: 8-line block ×5, first 2 shown]
	v_xor_b32_e32 v62, vcc_hi, v5
	v_xor_b32_e32 v5, vcc_lo, v5
	v_and_b32_e32 v61, v61, v62
	v_and_b32_e32 v62, v31, v5
	v_lshlrev_b32_e32 v5, 24, v30
	v_cmp_gt_i64_e32 vcc, 0, v[4:5]
	v_not_b32_e32 v5, v5
	v_ashrrev_i32_e32 v5, 31, v5
	v_xor_b32_e32 v30, vcc_hi, v5
	v_xor_b32_e32 v5, vcc_lo, v5
	; wave barrier
	ds_read_b32 v59, v60 offset:16
	v_and_b32_e32 v31, v61, v30
	v_and_b32_e32 v30, v62, v5
	v_mbcnt_lo_u32_b32 v5, v30, 0
	v_mbcnt_hi_u32_b32 v61, v31, v5
	v_cmp_eq_u32_e32 vcc, 0, v61
	v_cmp_ne_u64_e64 s[26:27], 0, v[30:31]
	s_and_b64 s[28:29], s[26:27], vcc
	; wave barrier
	s_and_saveexec_b64 s[26:27], s[28:29]
	s_cbranch_execz .LBB24_43
; %bb.42:
	v_bcnt_u32_b32 v5, v30, 0
	v_bcnt_u32_b32 v5, v31, v5
	s_waitcnt lgkmcnt(0)
	v_add_u32_e32 v5, v59, v5
	ds_write_b32 v60, v5 offset:16
.LBB24_43:
	s_or_b64 exec, exec, s[26:27]
	v_xor_b32_e32 v25, 0x80000000, v25
	v_lshrrev_b64 v[30:31], s68, v[24:25]
	v_and_b32_e32 v30, s55, v30
	v_lshl_add_u32 v5, v30, 2, v30
	v_add_lshl_u32 v63, v43, v5, 2
	v_and_b32_e32 v5, 1, v30
	v_add_co_u32_e32 v31, vcc, -1, v5
	v_addc_co_u32_e64 v64, s[26:27], 0, -1, vcc
	v_cmp_ne_u32_e32 vcc, 0, v5
	v_xor_b32_e32 v5, vcc_hi, v64
	v_and_b32_e32 v64, exec_hi, v5
	v_lshlrev_b32_e32 v5, 30, v30
	v_xor_b32_e32 v31, vcc_lo, v31
	v_cmp_gt_i64_e32 vcc, 0, v[4:5]
	v_not_b32_e32 v5, v5
	v_ashrrev_i32_e32 v5, 31, v5
	v_and_b32_e32 v31, exec_lo, v31
	v_xor_b32_e32 v65, vcc_hi, v5
	v_xor_b32_e32 v5, vcc_lo, v5
	v_and_b32_e32 v31, v31, v5
	v_lshlrev_b32_e32 v5, 29, v30
	v_cmp_gt_i64_e32 vcc, 0, v[4:5]
	v_not_b32_e32 v5, v5
	v_ashrrev_i32_e32 v5, 31, v5
	v_and_b32_e32 v64, v64, v65
	v_xor_b32_e32 v65, vcc_hi, v5
	v_xor_b32_e32 v5, vcc_lo, v5
	v_and_b32_e32 v31, v31, v5
	v_lshlrev_b32_e32 v5, 28, v30
	v_cmp_gt_i64_e32 vcc, 0, v[4:5]
	v_not_b32_e32 v5, v5
	v_ashrrev_i32_e32 v5, 31, v5
	v_and_b32_e32 v64, v64, v65
	;; [unrolled: 8-line block ×5, first 2 shown]
	v_xor_b32_e32 v65, vcc_hi, v5
	v_xor_b32_e32 v5, vcc_lo, v5
	v_and_b32_e32 v31, v31, v5
	v_lshlrev_b32_e32 v5, 24, v30
	v_cmp_gt_i64_e32 vcc, 0, v[4:5]
	v_not_b32_e32 v4, v5
	v_ashrrev_i32_e32 v4, 31, v4
	v_xor_b32_e32 v5, vcc_hi, v4
	v_xor_b32_e32 v4, vcc_lo, v4
	; wave barrier
	ds_read_b32 v62, v63 offset:16
	v_and_b32_e32 v64, v64, v65
	v_and_b32_e32 v4, v31, v4
	;; [unrolled: 1-line block ×3, first 2 shown]
	v_mbcnt_lo_u32_b32 v30, v4, 0
	v_mbcnt_hi_u32_b32 v64, v5, v30
	v_cmp_eq_u32_e32 vcc, 0, v64
	v_cmp_ne_u64_e64 s[26:27], 0, v[4:5]
	s_and_b64 s[28:29], s[26:27], vcc
	; wave barrier
	s_and_saveexec_b64 s[26:27], s[28:29]
	s_cbranch_execz .LBB24_45
; %bb.44:
	v_bcnt_u32_b32 v4, v4, 0
	v_bcnt_u32_b32 v4, v5, v4
	s_waitcnt lgkmcnt(0)
	v_add_u32_e32 v4, v62, v4
	ds_write_b32 v63, v4 offset:16
.LBB24_45:
	s_or_b64 exec, exec, s[26:27]
	v_xor_b32_e32 v27, 0x80000000, v27
	v_lshrrev_b64 v[4:5], s68, v[26:27]
	v_and_b32_e32 v30, s55, v4
	v_and_b32_e32 v5, 1, v30
	v_add_co_u32_e32 v31, vcc, -1, v5
	v_addc_co_u32_e64 v67, s[26:27], 0, -1, vcc
	v_cmp_ne_u32_e32 vcc, 0, v5
	v_lshl_add_u32 v4, v30, 2, v30
	v_xor_b32_e32 v5, vcc_hi, v67
	v_add_lshl_u32 v66, v43, v4, 2
	v_mov_b32_e32 v4, 0
	v_and_b32_e32 v67, exec_hi, v5
	v_lshlrev_b32_e32 v5, 30, v30
	v_xor_b32_e32 v31, vcc_lo, v31
	v_cmp_gt_i64_e32 vcc, 0, v[4:5]
	v_not_b32_e32 v5, v5
	v_ashrrev_i32_e32 v5, 31, v5
	v_and_b32_e32 v31, exec_lo, v31
	v_xor_b32_e32 v68, vcc_hi, v5
	v_xor_b32_e32 v5, vcc_lo, v5
	v_and_b32_e32 v31, v31, v5
	v_lshlrev_b32_e32 v5, 29, v30
	v_cmp_gt_i64_e32 vcc, 0, v[4:5]
	v_not_b32_e32 v5, v5
	v_ashrrev_i32_e32 v5, 31, v5
	v_and_b32_e32 v67, v67, v68
	v_xor_b32_e32 v68, vcc_hi, v5
	v_xor_b32_e32 v5, vcc_lo, v5
	v_and_b32_e32 v31, v31, v5
	v_lshlrev_b32_e32 v5, 28, v30
	v_cmp_gt_i64_e32 vcc, 0, v[4:5]
	v_not_b32_e32 v5, v5
	v_ashrrev_i32_e32 v5, 31, v5
	v_and_b32_e32 v67, v67, v68
	;; [unrolled: 8-line block ×5, first 2 shown]
	v_xor_b32_e32 v68, vcc_hi, v5
	v_xor_b32_e32 v5, vcc_lo, v5
	v_and_b32_e32 v67, v67, v68
	v_and_b32_e32 v68, v31, v5
	v_lshlrev_b32_e32 v5, 24, v30
	v_cmp_gt_i64_e32 vcc, 0, v[4:5]
	v_not_b32_e32 v5, v5
	v_ashrrev_i32_e32 v5, 31, v5
	v_xor_b32_e32 v30, vcc_hi, v5
	v_xor_b32_e32 v5, vcc_lo, v5
	; wave barrier
	ds_read_b32 v65, v66 offset:16
	v_and_b32_e32 v31, v67, v30
	v_and_b32_e32 v30, v68, v5
	v_mbcnt_lo_u32_b32 v5, v30, 0
	v_mbcnt_hi_u32_b32 v67, v31, v5
	v_cmp_eq_u32_e32 vcc, 0, v67
	v_cmp_ne_u64_e64 s[26:27], 0, v[30:31]
	s_and_b64 s[28:29], s[26:27], vcc
	; wave barrier
	s_and_saveexec_b64 s[26:27], s[28:29]
	s_cbranch_execz .LBB24_47
; %bb.46:
	v_bcnt_u32_b32 v5, v30, 0
	v_bcnt_u32_b32 v5, v31, v5
	s_waitcnt lgkmcnt(0)
	v_add_u32_e32 v5, v65, v5
	ds_write_b32 v66, v5 offset:16
.LBB24_47:
	s_or_b64 exec, exec, s[26:27]
	v_xor_b32_e32 v29, 0x80000000, v29
	v_lshrrev_b64 v[30:31], s68, v[28:29]
	v_and_b32_e32 v30, s55, v30
	v_lshl_add_u32 v5, v30, 2, v30
	v_add_lshl_u32 v68, v43, v5, 2
	v_and_b32_e32 v5, 1, v30
	v_add_co_u32_e32 v31, vcc, -1, v5
	v_addc_co_u32_e64 v70, s[26:27], 0, -1, vcc
	v_cmp_ne_u32_e32 vcc, 0, v5
	v_xor_b32_e32 v5, vcc_hi, v70
	v_and_b32_e32 v70, exec_hi, v5
	v_lshlrev_b32_e32 v5, 30, v30
	v_xor_b32_e32 v31, vcc_lo, v31
	v_cmp_gt_i64_e32 vcc, 0, v[4:5]
	v_not_b32_e32 v5, v5
	v_ashrrev_i32_e32 v5, 31, v5
	v_and_b32_e32 v31, exec_lo, v31
	v_xor_b32_e32 v71, vcc_hi, v5
	v_xor_b32_e32 v5, vcc_lo, v5
	v_and_b32_e32 v31, v31, v5
	v_lshlrev_b32_e32 v5, 29, v30
	v_cmp_gt_i64_e32 vcc, 0, v[4:5]
	v_not_b32_e32 v5, v5
	v_ashrrev_i32_e32 v5, 31, v5
	v_and_b32_e32 v70, v70, v71
	v_xor_b32_e32 v71, vcc_hi, v5
	v_xor_b32_e32 v5, vcc_lo, v5
	v_and_b32_e32 v31, v31, v5
	v_lshlrev_b32_e32 v5, 28, v30
	v_cmp_gt_i64_e32 vcc, 0, v[4:5]
	v_not_b32_e32 v5, v5
	v_ashrrev_i32_e32 v5, 31, v5
	v_and_b32_e32 v70, v70, v71
	;; [unrolled: 8-line block ×5, first 2 shown]
	v_xor_b32_e32 v71, vcc_hi, v5
	v_xor_b32_e32 v5, vcc_lo, v5
	v_and_b32_e32 v31, v31, v5
	v_lshlrev_b32_e32 v5, 24, v30
	v_cmp_gt_i64_e32 vcc, 0, v[4:5]
	v_not_b32_e32 v4, v5
	v_ashrrev_i32_e32 v4, 31, v4
	v_xor_b32_e32 v5, vcc_hi, v4
	v_xor_b32_e32 v4, vcc_lo, v4
	; wave barrier
	ds_read_b32 v43, v68 offset:16
	v_and_b32_e32 v70, v70, v71
	v_and_b32_e32 v4, v31, v4
	;; [unrolled: 1-line block ×3, first 2 shown]
	v_mbcnt_lo_u32_b32 v30, v4, 0
	v_mbcnt_hi_u32_b32 v70, v5, v30
	v_cmp_eq_u32_e32 vcc, 0, v70
	v_cmp_ne_u64_e64 s[26:27], 0, v[4:5]
	v_add_u32_e32 v69, 16, v34
	s_and_b64 s[28:29], s[26:27], vcc
	; wave barrier
	s_and_saveexec_b64 s[26:27], s[28:29]
	s_cbranch_execz .LBB24_49
; %bb.48:
	v_bcnt_u32_b32 v4, v4, 0
	v_bcnt_u32_b32 v4, v5, v4
	s_waitcnt lgkmcnt(0)
	v_add_u32_e32 v4, v43, v4
	ds_write_b32 v68, v4 offset:16
.LBB24_49:
	s_or_b64 exec, exec, s[26:27]
	; wave barrier
	s_waitcnt lgkmcnt(0)
	s_barrier
	ds_read2_b32 v[30:31], v34 offset0:4 offset1:5
	ds_read2_b32 v[4:5], v69 offset0:2 offset1:3
	ds_read_b32 v71, v69 offset:16
	v_min_u32_e32 v3, 0xc0, v3
	v_or_b32_e32 v3, 63, v3
	s_waitcnt lgkmcnt(1)
	v_add3_u32 v72, v31, v30, v4
	s_waitcnt lgkmcnt(0)
	v_add3_u32 v71, v72, v5, v71
	v_and_b32_e32 v72, 15, v32
	v_cmp_ne_u32_e32 vcc, 0, v72
	v_mov_b32_dpp v73, v71 row_shr:1 row_mask:0xf bank_mask:0xf
	v_cndmask_b32_e32 v73, 0, v73, vcc
	v_add_u32_e32 v71, v73, v71
	v_cmp_lt_u32_e32 vcc, 1, v72
	s_nop 0
	v_mov_b32_dpp v73, v71 row_shr:2 row_mask:0xf bank_mask:0xf
	v_cndmask_b32_e32 v73, 0, v73, vcc
	v_add_u32_e32 v71, v71, v73
	v_cmp_lt_u32_e32 vcc, 3, v72
	s_nop 0
	;; [unrolled: 5-line block ×3, first 2 shown]
	v_mov_b32_dpp v73, v71 row_shr:8 row_mask:0xf bank_mask:0xf
	v_cndmask_b32_e32 v72, 0, v73, vcc
	v_add_u32_e32 v71, v71, v72
	v_bfe_i32 v73, v32, 4, 1
	v_cmp_lt_u32_e32 vcc, 31, v32
	v_mov_b32_dpp v72, v71 row_bcast:15 row_mask:0xf bank_mask:0xf
	v_and_b32_e32 v72, v73, v72
	v_add_u32_e32 v71, v71, v72
	s_nop 1
	v_mov_b32_dpp v72, v71 row_bcast:31 row_mask:0xf bank_mask:0xf
	v_cndmask_b32_e32 v72, 0, v72, vcc
	v_add_u32_e32 v71, v71, v72
	v_lshrrev_b32_e32 v72, 6, v2
	v_cmp_eq_u32_e32 vcc, v3, v2
	s_and_saveexec_b64 s[26:27], vcc
	s_cbranch_execz .LBB24_51
; %bb.50:
	v_lshlrev_b32_e32 v3, 2, v72
	ds_write_b32 v3, v71
.LBB24_51:
	s_or_b64 exec, exec, s[26:27]
	v_cmp_gt_u32_e32 vcc, 4, v2
	s_waitcnt lgkmcnt(0)
	s_barrier
	s_and_saveexec_b64 s[26:27], vcc
	s_cbranch_execz .LBB24_53
; %bb.52:
	v_lshlrev_b32_e32 v3, 2, v2
	ds_read_b32 v73, v3
	v_and_b32_e32 v74, 3, v32
	v_cmp_ne_u32_e32 vcc, 0, v74
	s_waitcnt lgkmcnt(0)
	v_mov_b32_dpp v75, v73 row_shr:1 row_mask:0xf bank_mask:0xf
	v_cndmask_b32_e32 v75, 0, v75, vcc
	v_add_u32_e32 v73, v75, v73
	v_cmp_lt_u32_e32 vcc, 1, v74
	s_nop 0
	v_mov_b32_dpp v75, v73 row_shr:2 row_mask:0xf bank_mask:0xf
	v_cndmask_b32_e32 v74, 0, v75, vcc
	v_add_u32_e32 v73, v73, v74
	ds_write_b32 v3, v73
.LBB24_53:
	s_or_b64 exec, exec, s[26:27]
	v_cmp_lt_u32_e32 vcc, 63, v2
	v_mov_b32_e32 v3, 0
	s_waitcnt lgkmcnt(0)
	s_barrier
	s_and_saveexec_b64 s[26:27], vcc
	s_cbranch_execz .LBB24_55
; %bb.54:
	v_lshl_add_u32 v3, v72, 2, -4
	ds_read_b32 v3, v3
.LBB24_55:
	s_or_b64 exec, exec, s[26:27]
	v_add_u32_e32 v72, -1, v32
	v_and_b32_e32 v73, 64, v32
	v_cmp_lt_i32_e32 vcc, v72, v73
	v_cndmask_b32_e32 v72, v72, v32, vcc
	s_waitcnt lgkmcnt(0)
	v_add_u32_e32 v71, v3, v71
	v_lshlrev_b32_e32 v72, 2, v72
	ds_bpermute_b32 v71, v72, v71
	v_cmp_eq_u32_e32 vcc, 0, v32
	s_movk_i32 s26, 0x100
	s_waitcnt lgkmcnt(0)
	v_cndmask_b32_e32 v3, v71, v3, vcc
	v_cmp_ne_u32_e32 vcc, 0, v2
	v_cndmask_b32_e32 v3, 0, v3, vcc
	v_add_u32_e32 v30, v3, v30
	v_add_u32_e32 v31, v30, v31
	;; [unrolled: 1-line block ×4, first 2 shown]
	ds_write2_b32 v34, v3, v30 offset0:4 offset1:5
	ds_write2_b32 v69, v31, v4 offset0:2 offset1:3
	ds_write_b32 v69, v5 offset:16
	s_waitcnt lgkmcnt(0)
	s_barrier
	ds_read_b32 v5, v38 offset:16
	ds_read_b32 v38, v41 offset:16
	;; [unrolled: 1-line block ×13, first 2 shown]
	v_add_u32_e32 v31, 1, v2
	v_cmp_ne_u32_e32 vcc, s26, v31
	v_mov_b32_e32 v3, 0xc00
	s_and_saveexec_b64 s[26:27], vcc
	s_cbranch_execz .LBB24_57
; %bb.56:
	v_mul_u32_u24_e32 v3, 5, v31
	v_lshlrev_b32_e32 v3, 2, v3
	ds_read_b32 v3, v3 offset:16
.LBB24_57:
	s_or_b64 exec, exec, s[26:27]
	s_waitcnt lgkmcnt(1)
	v_add_u32_e32 v30, v30, v35
	v_add3_u32 v31, v39, v37, v5
	v_lshlrev_b32_e32 v5, 3, v30
	v_add3_u32 v34, v42, v40, v38
	s_waitcnt lgkmcnt(0)
	s_barrier
	ds_write_b64 v5, v[6:7] offset:2048
	v_lshlrev_b32_e32 v5, 3, v31
	v_add3_u32 v35, v46, v44, v41
	ds_write_b64 v5, v[8:9] offset:2048
	v_lshlrev_b32_e32 v5, 3, v34
	v_add3_u32 v36, v49, v47, v45
	;; [unrolled: 3-line block ×8, first 2 shown]
	ds_write_b64 v5, v[22:23] offset:2048
	v_lshlrev_b32_e32 v5, 3, v41
	v_lshl_add_u32 v6, s6, 8, v2
	v_mov_b32_e32 v7, 0
	v_add3_u32 v43, v70, v43, v66
	ds_write_b64 v5, v[24:25] offset:2048
	v_lshlrev_b32_e32 v5, 3, v42
	v_lshlrev_b64 v[8:9], 2, v[6:7]
	ds_write_b64 v5, v[26:27] offset:2048
	v_lshlrev_b32_e32 v5, 3, v43
	v_sub_u32_e32 v12, v3, v4
	v_mov_b32_e32 v3, s73
	v_add_co_u32_e32 v8, vcc, s72, v8
	ds_write_b64 v5, v[28:29] offset:2048
	v_addc_co_u32_e32 v9, vcc, v3, v9, vcc
	v_or_b32_e32 v5, 2.0, v12
	s_waitcnt lgkmcnt(0)
	s_barrier
	global_store_dword v[8:9], v5, off
	s_mov_b64 s[26:27], 0
	s_brev_b32 s34, 1
	s_mov_b32 s35, s7
	v_mov_b32_e32 v5, 0
                                        ; implicit-def: $sgpr28_sgpr29
	s_branch .LBB24_59
.LBB24_58:                              ;   in Loop: Header=BB24_59 Depth=1
	s_or_b64 exec, exec, s[28:29]
	v_and_b32_e32 v10, 0x3fffffff, v13
	v_add_u32_e32 v5, v10, v5
	v_cmp_eq_u32_e64 s[28:29], s34, v6
	s_and_b64 s[30:31], exec, s[28:29]
	s_or_b64 s[26:27], s[30:31], s[26:27]
	s_andn2_b64 exec, exec, s[26:27]
	s_cbranch_execz .LBB24_65
.LBB24_59:                              ; =>This Loop Header: Depth=1
                                        ;     Child Loop BB24_62 Depth 2
	s_or_b64 s[28:29], s[28:29], exec
	s_cmp_eq_u32 s35, 0
	s_cbranch_scc1 .LBB24_64
; %bb.60:                               ;   in Loop: Header=BB24_59 Depth=1
	s_add_i32 s35, s35, -1
	v_lshl_add_u32 v6, s35, 8, v2
	v_lshlrev_b64 v[10:11], 2, v[6:7]
	v_add_co_u32_e32 v10, vcc, s72, v10
	v_addc_co_u32_e32 v11, vcc, v3, v11, vcc
	global_load_dword v13, v[10:11], off glc
	s_waitcnt vmcnt(0)
	v_and_b32_e32 v6, -2.0, v13
	v_cmp_eq_u32_e32 vcc, 0, v6
	s_and_saveexec_b64 s[28:29], vcc
	s_cbranch_execz .LBB24_58
; %bb.61:                               ;   in Loop: Header=BB24_59 Depth=1
	s_mov_b64 s[30:31], 0
.LBB24_62:                              ;   Parent Loop BB24_59 Depth=1
                                        ; =>  This Inner Loop Header: Depth=2
	global_load_dword v13, v[10:11], off glc
	s_waitcnt vmcnt(0)
	v_and_b32_e32 v6, -2.0, v13
	v_cmp_ne_u32_e32 vcc, 0, v6
	s_or_b64 s[30:31], vcc, s[30:31]
	s_andn2_b64 exec, exec, s[30:31]
	s_cbranch_execnz .LBB24_62
; %bb.63:                               ;   in Loop: Header=BB24_59 Depth=1
	s_or_b64 exec, exec, s[30:31]
	s_branch .LBB24_58
.LBB24_64:                              ;   in Loop: Header=BB24_59 Depth=1
                                        ; implicit-def: $sgpr35
	s_and_b64 s[30:31], exec, s[28:29]
	s_or_b64 s[26:27], s[30:31], s[26:27]
	s_andn2_b64 exec, exec, s[26:27]
	s_cbranch_execnz .LBB24_59
.LBB24_65:
	s_or_b64 exec, exec, s[26:27]
	v_add_u32_e32 v3, v5, v12
	v_or_b32_e32 v3, 0x80000000, v3
	global_store_dword v[8:9], v3, off
	v_lshlrev_b32_e32 v8, 3, v2
	global_load_dwordx2 v[6:7], v8, s[64:65]
	v_sub_co_u32_e32 v9, vcc, v5, v4
	v_subb_co_u32_e64 v10, s[26:27], 0, 0, vcc
	v_mov_b32_e32 v3, 0
	v_mov_b32_e32 v5, v3
	s_waitcnt vmcnt(0)
	v_add_co_u32_e32 v6, vcc, v9, v6
	v_addc_co_u32_e32 v7, vcc, v10, v7, vcc
	v_cmp_gt_u32_e32 vcc, s70, v2
	ds_write_b64 v8, v[6:7]
	s_waitcnt lgkmcnt(0)
	s_barrier
	s_and_saveexec_b64 s[28:29], vcc
	s_cbranch_execz .LBB24_67
; %bb.66:
	ds_read_b64 v[6:7], v8 offset:2048
	s_waitcnt lgkmcnt(0)
	v_lshrrev_b64 v[10:11], s68, v[6:7]
	v_and_b32_e32 v9, s55, v10
	v_lshlrev_b32_e32 v9, 3, v9
	ds_read_b64 v[10:11], v9
	v_mov_b32_e32 v9, s59
	v_xor_b32_e32 v7, 0x80000000, v7
	s_waitcnt lgkmcnt(0)
	v_lshlrev_b64 v[10:11], 3, v[10:11]
	v_add_co_u32_e64 v10, s[26:27], s58, v10
	v_addc_co_u32_e64 v9, s[26:27], v9, v11, s[26:27]
	v_add_co_u32_e64 v10, s[26:27], v10, v8
	v_addc_co_u32_e64 v11, s[26:27], 0, v9, s[26:27]
	global_store_dwordx2 v[10:11], v[6:7], off
.LBB24_67:
	s_or_b64 exec, exec, s[28:29]
	v_add_u32_e32 v6, 0x100, v2
	v_cmp_gt_u32_e64 s[26:27], s70, v6
	s_and_saveexec_b64 s[30:31], s[26:27]
	s_cbranch_execz .LBB24_69
; %bb.68:
	v_lshlrev_b32_e32 v9, 3, v2
	ds_read_b64 v[6:7], v9 offset:4096
	v_mov_b32_e32 v13, s59
	s_waitcnt lgkmcnt(0)
	v_lshrrev_b64 v[10:11], s68, v[6:7]
	v_and_b32_e32 v10, s55, v10
	v_lshlrev_b32_e32 v10, 3, v10
	ds_read_b64 v[10:11], v10
	v_xor_b32_e32 v7, 0x80000000, v7
	s_waitcnt lgkmcnt(0)
	v_lshlrev_b64 v[10:11], 3, v[10:11]
	v_add_co_u32_e64 v10, s[28:29], s58, v10
	v_addc_co_u32_e64 v11, s[28:29], v13, v11, s[28:29]
	v_add_co_u32_e64 v10, s[28:29], v10, v9
	v_addc_co_u32_e64 v11, s[28:29], 0, v11, s[28:29]
	global_store_dwordx2 v[10:11], v[6:7], off offset:2048
.LBB24_69:
	s_or_b64 exec, exec, s[30:31]
	v_add_u32_e32 v6, 0x200, v2
	v_cmp_gt_u32_e64 s[28:29], s70, v6
	s_and_saveexec_b64 s[34:35], s[28:29]
	s_cbranch_execz .LBB24_71
; %bb.70:
	v_lshlrev_b32_e32 v7, 3, v2
	ds_read_b64 v[10:11], v7 offset:6144
	v_lshlrev_b32_e32 v13, 3, v6
	v_mov_b32_e32 v9, s59
	s_waitcnt lgkmcnt(0)
	v_lshrrev_b64 v[14:15], s68, v[10:11]
	v_and_b32_e32 v7, s55, v14
	v_lshlrev_b32_e32 v7, 3, v7
	ds_read_b64 v[14:15], v7
	v_xor_b32_e32 v11, 0x80000000, v11
	s_waitcnt lgkmcnt(0)
	v_lshlrev_b64 v[6:7], 3, v[14:15]
	v_add_co_u32_e64 v6, s[30:31], s58, v6
	v_addc_co_u32_e64 v7, s[30:31], v9, v7, s[30:31]
	v_add_co_u32_e64 v6, s[30:31], v6, v13
	v_addc_co_u32_e64 v7, s[30:31], 0, v7, s[30:31]
	global_store_dwordx2 v[6:7], v[10:11], off
.LBB24_71:
	s_or_b64 exec, exec, s[34:35]
	v_add_u32_e32 v6, 0x300, v2
	v_cmp_gt_u32_e64 s[30:31], s70, v6
	s_and_saveexec_b64 s[36:37], s[30:31]
	s_cbranch_execz .LBB24_73
; %bb.72:
	v_lshlrev_b32_e32 v7, 3, v2
	ds_read_b64 v[10:11], v7 offset:8192
	v_lshlrev_b32_e32 v13, 3, v6
	v_mov_b32_e32 v9, s59
	s_waitcnt lgkmcnt(0)
	v_lshrrev_b64 v[14:15], s68, v[10:11]
	v_and_b32_e32 v7, s55, v14
	v_lshlrev_b32_e32 v7, 3, v7
	ds_read_b64 v[14:15], v7
	v_xor_b32_e32 v11, 0x80000000, v11
	s_waitcnt lgkmcnt(0)
	v_lshlrev_b64 v[6:7], 3, v[14:15]
	v_add_co_u32_e64 v6, s[34:35], s58, v6
	v_addc_co_u32_e64 v7, s[34:35], v9, v7, s[34:35]
	v_add_co_u32_e64 v6, s[34:35], v6, v13
	v_addc_co_u32_e64 v7, s[34:35], 0, v7, s[34:35]
	global_store_dwordx2 v[6:7], v[10:11], off
.LBB24_73:
	s_or_b64 exec, exec, s[36:37]
	v_or_b32_e32 v6, 0x400, v2
	v_cmp_gt_u32_e64 s[34:35], s70, v6
	s_and_saveexec_b64 s[38:39], s[34:35]
	s_cbranch_execz .LBB24_75
; %bb.74:
	v_lshlrev_b32_e32 v7, 3, v2
	ds_read_b64 v[10:11], v7 offset:10240
	v_lshlrev_b32_e32 v13, 3, v6
	v_mov_b32_e32 v9, s59
	s_waitcnt lgkmcnt(0)
	v_lshrrev_b64 v[14:15], s68, v[10:11]
	v_and_b32_e32 v7, s55, v14
	v_lshlrev_b32_e32 v7, 3, v7
	ds_read_b64 v[14:15], v7
	v_xor_b32_e32 v11, 0x80000000, v11
	s_waitcnt lgkmcnt(0)
	v_lshlrev_b64 v[6:7], 3, v[14:15]
	v_add_co_u32_e64 v6, s[36:37], s58, v6
	v_addc_co_u32_e64 v7, s[36:37], v9, v7, s[36:37]
	v_add_co_u32_e64 v6, s[36:37], v6, v13
	v_addc_co_u32_e64 v7, s[36:37], 0, v7, s[36:37]
	global_store_dwordx2 v[6:7], v[10:11], off
.LBB24_75:
	s_or_b64 exec, exec, s[38:39]
	v_add_u32_e32 v6, 0x500, v2
	v_cmp_gt_u32_e64 s[36:37], s70, v6
	s_and_saveexec_b64 s[40:41], s[36:37]
	s_cbranch_execz .LBB24_77
; %bb.76:
	v_lshlrev_b32_e32 v7, 3, v2
	ds_read_b64 v[10:11], v7 offset:12288
	v_lshlrev_b32_e32 v13, 3, v6
	v_mov_b32_e32 v9, s59
	s_waitcnt lgkmcnt(0)
	v_lshrrev_b64 v[14:15], s68, v[10:11]
	v_and_b32_e32 v7, s55, v14
	v_lshlrev_b32_e32 v7, 3, v7
	ds_read_b64 v[14:15], v7
	v_xor_b32_e32 v11, 0x80000000, v11
	s_waitcnt lgkmcnt(0)
	v_lshlrev_b64 v[6:7], 3, v[14:15]
	v_add_co_u32_e64 v6, s[38:39], s58, v6
	v_addc_co_u32_e64 v7, s[38:39], v9, v7, s[38:39]
	v_add_co_u32_e64 v6, s[38:39], v6, v13
	v_addc_co_u32_e64 v7, s[38:39], 0, v7, s[38:39]
	global_store_dwordx2 v[6:7], v[10:11], off
.LBB24_77:
	s_or_b64 exec, exec, s[40:41]
	v_add_u32_e32 v6, 0x600, v2
	;; [unrolled: 24-line block ×3, first 2 shown]
	v_cmp_gt_u32_e64 s[40:41], s70, v6
	s_and_saveexec_b64 s[44:45], s[40:41]
	s_cbranch_execz .LBB24_81
; %bb.80:
	v_lshlrev_b32_e32 v7, 3, v2
	ds_read_b64 v[10:11], v7 offset:16384
	v_lshlrev_b32_e32 v13, 3, v6
	v_mov_b32_e32 v9, s59
	s_waitcnt lgkmcnt(0)
	v_lshrrev_b64 v[14:15], s68, v[10:11]
	v_and_b32_e32 v7, s55, v14
	v_lshlrev_b32_e32 v7, 3, v7
	ds_read_b64 v[14:15], v7
	v_xor_b32_e32 v11, 0x80000000, v11
	s_waitcnt lgkmcnt(0)
	v_lshlrev_b64 v[6:7], 3, v[14:15]
	v_add_co_u32_e64 v6, s[42:43], s58, v6
	v_addc_co_u32_e64 v7, s[42:43], v9, v7, s[42:43]
	v_add_co_u32_e64 v6, s[42:43], v6, v13
	v_addc_co_u32_e64 v7, s[42:43], 0, v7, s[42:43]
	global_store_dwordx2 v[6:7], v[10:11], off
.LBB24_81:
	s_or_b64 exec, exec, s[44:45]
	v_or_b32_e32 v6, 0x800, v2
	v_cmp_gt_u32_e64 s[42:43], s70, v6
	s_and_saveexec_b64 s[46:47], s[42:43]
	s_cbranch_execz .LBB24_83
; %bb.82:
	v_lshlrev_b32_e32 v7, 3, v2
	ds_read_b64 v[10:11], v7 offset:18432
	v_lshlrev_b32_e32 v13, 3, v6
	v_mov_b32_e32 v9, s59
	s_waitcnt lgkmcnt(0)
	v_lshrrev_b64 v[14:15], s68, v[10:11]
	v_and_b32_e32 v7, s55, v14
	v_lshlrev_b32_e32 v7, 3, v7
	ds_read_b64 v[14:15], v7
	v_xor_b32_e32 v11, 0x80000000, v11
	s_waitcnt lgkmcnt(0)
	v_lshlrev_b64 v[6:7], 3, v[14:15]
	v_add_co_u32_e64 v6, s[44:45], s58, v6
	v_addc_co_u32_e64 v7, s[44:45], v9, v7, s[44:45]
	v_add_co_u32_e64 v6, s[44:45], v6, v13
	v_addc_co_u32_e64 v7, s[44:45], 0, v7, s[44:45]
	global_store_dwordx2 v[6:7], v[10:11], off
.LBB24_83:
	s_or_b64 exec, exec, s[46:47]
	v_add_u32_e32 v6, 0x900, v2
	v_cmp_gt_u32_e64 s[44:45], s70, v6
	s_and_saveexec_b64 s[48:49], s[44:45]
	s_cbranch_execz .LBB24_85
; %bb.84:
	v_lshlrev_b32_e32 v7, 3, v2
	ds_read_b64 v[10:11], v7 offset:20480
	v_lshlrev_b32_e32 v13, 3, v6
	v_mov_b32_e32 v9, s59
	s_waitcnt lgkmcnt(0)
	v_lshrrev_b64 v[14:15], s68, v[10:11]
	v_and_b32_e32 v7, s55, v14
	v_lshlrev_b32_e32 v7, 3, v7
	ds_read_b64 v[14:15], v7
	v_xor_b32_e32 v11, 0x80000000, v11
	s_waitcnt lgkmcnt(0)
	v_lshlrev_b64 v[6:7], 3, v[14:15]
	v_add_co_u32_e64 v6, s[46:47], s58, v6
	v_addc_co_u32_e64 v7, s[46:47], v9, v7, s[46:47]
	v_add_co_u32_e64 v6, s[46:47], v6, v13
	v_addc_co_u32_e64 v7, s[46:47], 0, v7, s[46:47]
	global_store_dwordx2 v[6:7], v[10:11], off
.LBB24_85:
	s_or_b64 exec, exec, s[48:49]
	v_add_u32_e32 v6, 0xa00, v2
	;; [unrolled: 24-line block ×3, first 2 shown]
	v_cmp_gt_u32_e64 s[48:49], s70, v6
	s_and_saveexec_b64 s[70:71], s[48:49]
	s_cbranch_execz .LBB24_89
; %bb.88:
	v_lshlrev_b32_e32 v7, 3, v2
	ds_read_b64 v[10:11], v7 offset:24576
	v_lshlrev_b32_e32 v13, 3, v6
	v_mov_b32_e32 v9, s59
	s_waitcnt lgkmcnt(0)
	v_lshrrev_b64 v[14:15], s68, v[10:11]
	v_and_b32_e32 v7, s55, v14
	v_lshlrev_b32_e32 v7, 3, v7
	ds_read_b64 v[14:15], v7
	v_xor_b32_e32 v11, 0x80000000, v11
	s_waitcnt lgkmcnt(0)
	v_lshlrev_b64 v[6:7], 3, v[14:15]
	v_add_co_u32_e64 v6, s[52:53], s58, v6
	v_addc_co_u32_e64 v7, s[52:53], v9, v7, s[52:53]
	v_add_co_u32_e64 v6, s[52:53], v6, v13
	v_addc_co_u32_e64 v7, s[52:53], 0, v7, s[52:53]
	global_store_dwordx2 v[6:7], v[10:11], off
.LBB24_89:
	s_or_b64 exec, exec, s[70:71]
	s_add_u32 s52, s60, s54
	s_addc_u32 s53, s61, 0
	v_mov_b32_e32 v6, s53
	v_add_co_u32_e64 v7, s[52:53], s52, v32
	v_addc_co_u32_e64 v9, s[52:53], 0, v6, s[52:53]
	v_add_co_u32_e64 v6, s[52:53], v7, v33
	v_addc_co_u32_e64 v7, s[52:53], 0, v9, s[52:53]
                                        ; implicit-def: $vgpr9
	s_and_saveexec_b64 s[52:53], s[0:1]
	s_xor_b64 s[0:1], exec, s[52:53]
	s_cbranch_execnz .LBB24_174
; %bb.90:
	s_or_b64 exec, exec, s[0:1]
                                        ; implicit-def: $vgpr10
	s_and_saveexec_b64 s[0:1], s[2:3]
	s_cbranch_execnz .LBB24_175
.LBB24_91:
	s_or_b64 exec, exec, s[0:1]
                                        ; implicit-def: $vgpr11
	s_and_saveexec_b64 s[0:1], s[50:51]
	s_cbranch_execnz .LBB24_176
.LBB24_92:
	s_or_b64 exec, exec, s[0:1]
                                        ; implicit-def: $vgpr13
	s_and_saveexec_b64 s[0:1], s[8:9]
	s_cbranch_execnz .LBB24_177
.LBB24_93:
	s_or_b64 exec, exec, s[0:1]
                                        ; implicit-def: $vgpr14
	s_and_saveexec_b64 s[0:1], s[10:11]
	s_cbranch_execnz .LBB24_178
.LBB24_94:
	s_or_b64 exec, exec, s[0:1]
                                        ; implicit-def: $vgpr15
	s_and_saveexec_b64 s[0:1], s[12:13]
	s_cbranch_execnz .LBB24_179
.LBB24_95:
	s_or_b64 exec, exec, s[0:1]
                                        ; implicit-def: $vgpr16
	s_and_saveexec_b64 s[0:1], s[14:15]
	s_cbranch_execnz .LBB24_180
.LBB24_96:
	s_or_b64 exec, exec, s[0:1]
                                        ; implicit-def: $vgpr19
	s_and_saveexec_b64 s[0:1], s[16:17]
	s_cbranch_execnz .LBB24_181
.LBB24_97:
	s_or_b64 exec, exec, s[0:1]
                                        ; implicit-def: $vgpr21
	s_and_saveexec_b64 s[0:1], s[18:19]
	s_cbranch_execnz .LBB24_182
.LBB24_98:
	s_or_b64 exec, exec, s[0:1]
                                        ; implicit-def: $vgpr24
	s_and_saveexec_b64 s[0:1], s[20:21]
	s_cbranch_execnz .LBB24_183
.LBB24_99:
	s_or_b64 exec, exec, s[0:1]
                                        ; implicit-def: $vgpr27
	s_and_saveexec_b64 s[0:1], s[22:23]
	s_cbranch_execnz .LBB24_184
.LBB24_100:
	s_or_b64 exec, exec, s[0:1]
                                        ; implicit-def: $vgpr32
	s_and_saveexec_b64 s[0:1], s[24:25]
	s_cbranch_execnz .LBB24_185
.LBB24_101:
	s_or_b64 exec, exec, s[0:1]
                                        ; implicit-def: $vgpr33
	s_and_saveexec_b64 s[0:1], vcc
	s_cbranch_execnz .LBB24_186
.LBB24_102:
	s_or_b64 exec, exec, s[0:1]
                                        ; implicit-def: $vgpr29
	s_and_saveexec_b64 s[0:1], s[26:27]
	s_cbranch_execnz .LBB24_187
.LBB24_103:
	s_or_b64 exec, exec, s[0:1]
                                        ; implicit-def: $vgpr28
	s_and_saveexec_b64 s[0:1], s[28:29]
	s_cbranch_execnz .LBB24_188
.LBB24_104:
	s_or_b64 exec, exec, s[0:1]
                                        ; implicit-def: $vgpr26
	s_and_saveexec_b64 s[0:1], s[30:31]
	s_cbranch_execnz .LBB24_189
.LBB24_105:
	s_or_b64 exec, exec, s[0:1]
                                        ; implicit-def: $vgpr25
	s_and_saveexec_b64 s[0:1], s[34:35]
	s_cbranch_execnz .LBB24_190
.LBB24_106:
	s_or_b64 exec, exec, s[0:1]
                                        ; implicit-def: $vgpr23
	s_and_saveexec_b64 s[0:1], s[36:37]
	s_cbranch_execnz .LBB24_191
.LBB24_107:
	s_or_b64 exec, exec, s[0:1]
                                        ; implicit-def: $vgpr22
	s_and_saveexec_b64 s[0:1], s[38:39]
	s_cbranch_execnz .LBB24_192
.LBB24_108:
	s_or_b64 exec, exec, s[0:1]
                                        ; implicit-def: $vgpr20
	s_and_saveexec_b64 s[0:1], s[40:41]
	s_cbranch_execnz .LBB24_193
.LBB24_109:
	s_or_b64 exec, exec, s[0:1]
                                        ; implicit-def: $vgpr18
	s_and_saveexec_b64 s[0:1], s[42:43]
	s_cbranch_execz .LBB24_111
.LBB24_110:
	v_lshlrev_b32_e32 v6, 3, v2
	ds_read_b64 v[6:7], v6 offset:18432
	s_waitcnt lgkmcnt(0)
	v_lshrrev_b64 v[6:7], s68, v[6:7]
	v_and_b32_e32 v18, s55, v6
.LBB24_111:
	s_or_b64 exec, exec, s[0:1]
	v_mov_b32_e32 v6, 0
	v_mov_b32_e32 v17, 0
	s_and_saveexec_b64 s[0:1], s[44:45]
	s_cbranch_execnz .LBB24_194
; %bb.112:
	s_or_b64 exec, exec, s[0:1]
	s_and_saveexec_b64 s[0:1], s[46:47]
	s_cbranch_execnz .LBB24_195
.LBB24_113:
	s_or_b64 exec, exec, s[0:1]
	v_mov_b32_e32 v7, 0
	s_and_saveexec_b64 s[0:1], s[48:49]
	s_cbranch_execz .LBB24_115
.LBB24_114:
	v_lshlrev_b32_e32 v7, 3, v2
	ds_read_b64 v[44:45], v7 offset:24576
	s_waitcnt lgkmcnt(0)
	v_lshrrev_b64 v[44:45], s68, v[44:45]
	v_and_b32_e32 v7, s55, v44
.LBB24_115:
	s_or_b64 exec, exec, s[0:1]
	s_barrier
	s_waitcnt vmcnt(0)
	ds_write_b8 v30, v9 offset:2048
	ds_write_b8 v31, v10 offset:2048
	;; [unrolled: 1-line block ×12, first 2 shown]
	s_waitcnt lgkmcnt(0)
	s_barrier
	s_and_saveexec_b64 s[0:1], vcc
	s_cbranch_execnz .LBB24_196
; %bb.116:
	s_or_b64 exec, exec, s[0:1]
	s_and_saveexec_b64 s[0:1], s[26:27]
	s_cbranch_execnz .LBB24_197
.LBB24_117:
	s_or_b64 exec, exec, s[0:1]
	s_and_saveexec_b64 s[0:1], s[28:29]
	s_cbranch_execnz .LBB24_198
.LBB24_118:
	s_or_b64 exec, exec, s[0:1]
	s_and_saveexec_b64 s[0:1], s[30:31]
	s_cbranch_execnz .LBB24_199
.LBB24_119:
	s_or_b64 exec, exec, s[0:1]
	s_and_saveexec_b64 s[0:1], s[34:35]
	s_cbranch_execnz .LBB24_200
.LBB24_120:
	s_or_b64 exec, exec, s[0:1]
	s_and_saveexec_b64 s[0:1], s[36:37]
	s_cbranch_execnz .LBB24_201
.LBB24_121:
	s_or_b64 exec, exec, s[0:1]
	s_and_saveexec_b64 s[0:1], s[38:39]
	s_cbranch_execnz .LBB24_202
.LBB24_122:
	s_or_b64 exec, exec, s[0:1]
	s_and_saveexec_b64 s[0:1], s[40:41]
	s_cbranch_execnz .LBB24_203
.LBB24_123:
	s_or_b64 exec, exec, s[0:1]
	s_and_saveexec_b64 s[0:1], s[42:43]
	s_cbranch_execnz .LBB24_204
.LBB24_124:
	s_or_b64 exec, exec, s[0:1]
	s_and_saveexec_b64 s[0:1], s[44:45]
	s_cbranch_execnz .LBB24_205
.LBB24_125:
	s_or_b64 exec, exec, s[0:1]
	s_and_saveexec_b64 s[0:1], s[46:47]
	s_cbranch_execnz .LBB24_206
.LBB24_126:
	s_or_b64 exec, exec, s[0:1]
	s_and_saveexec_b64 s[0:1], s[48:49]
	s_cbranch_execz .LBB24_128
.LBB24_127:
	v_lshlrev_b32_e32 v6, 3, v7
	ds_read_b64 v[6:7], v6
	ds_read_u8 v9, v2 offset:4864
	v_mov_b32_e32 v10, s63
	s_waitcnt lgkmcnt(1)
	v_add_co_u32_e32 v6, vcc, s62, v6
	v_addc_co_u32_e32 v7, vcc, v10, v7, vcc
	v_add_co_u32_e32 v6, vcc, v6, v2
	v_addc_co_u32_e32 v7, vcc, 0, v7, vcc
	s_waitcnt lgkmcnt(0)
	global_store_byte v[6:7], v9, off offset:2816
.LBB24_128:
	s_or_b64 exec, exec, s[0:1]
	s_add_i32 s33, s33, -1
	s_cmp_eq_u32 s6, s33
	s_cselect_b64 s[0:1], -1, 0
	s_branch .LBB24_171
.LBB24_129:
	s_mov_b64 s[0:1], 0
                                        ; implicit-def: $vgpr8
                                        ; implicit-def: $vgpr2_vgpr3
                                        ; implicit-def: $vgpr4_vgpr5
                                        ; implicit-def: $vgpr12
	s_cbranch_execz .LBB24_171
; %bb.130:
	s_mov_b32 s55, 0
	s_lshl_b64 s[0:1], s[54:55], 3
	v_mbcnt_hi_u32_b32 v3, -1, v1
	s_add_u32 s0, s56, s0
	v_lshlrev_b32_e32 v1, 3, v3
	v_add_co_u32_e32 v1, vcc, s0, v1
	s_load_dword s8, s[4:5], 0x50
	s_load_dword s0, s[4:5], 0x5c
	v_and_b32_e32 v2, 0x3ff, v0
	s_addc_u32 s1, s57, s1
	v_and_b32_e32 v32, 0xc0, v2
	v_mul_u32_u24_e32 v30, 12, v32
	v_mov_b32_e32 v5, s1
	v_addc_co_u32_e32 v5, vcc, 0, v5, vcc
	v_lshlrev_b32_e32 v6, 3, v30
	s_add_u32 s1, s4, 0x50
	v_add_co_u32_e32 v8, vcc, v1, v6
	s_addc_u32 s2, s5, 0
	s_waitcnt lgkmcnt(0)
	s_lshr_b32 s3, s0, 16
	v_addc_co_u32_e32 v9, vcc, 0, v5, vcc
	s_cmp_lt_u32 s6, s8
	global_load_dwordx2 v[6:7], v[8:9], off
	s_cselect_b32 s0, 12, 18
	s_add_u32 s0, s1, s0
	v_mov_b32_e32 v4, 0
	s_addc_u32 s1, s2, 0
	global_load_ushort v5, v4, s[0:1]
	v_mul_u32_u24_e32 v10, 5, v2
	v_lshlrev_b32_e32 v31, 2, v10
	ds_write2_b32 v31, v4, v4 offset0:4 offset1:5
	ds_write2_b32 v31, v4, v4 offset0:6 offset1:7
	ds_write_b32 v31, v4 offset:32
	s_movk_i32 s0, 0x1000
	global_load_dwordx2 v[26:27], v[8:9], off offset:512
	global_load_dwordx2 v[24:25], v[8:9], off offset:1024
	;; [unrolled: 1-line block ×7, first 2 shown]
	v_add_co_u32_e32 v28, vcc, s0, v8
	v_bfe_u32 v1, v0, 10, 10
	v_bfe_u32 v0, v0, 20, 10
	v_addc_co_u32_e32 v29, vcc, 0, v9, vcc
	v_mad_u32_u24 v33, v0, s3, v1
	global_load_dwordx2 v[14:15], v[28:29], off
	global_load_dwordx2 v[10:11], v[28:29], off offset:512
	global_load_dwordx2 v[8:9], v[28:29], off offset:1024
	global_load_dwordx2 v[0:1], v[28:29], off offset:1536
	s_lshl_b32 s0, -1, s69
	s_not_b32 s9, s0
	s_waitcnt lgkmcnt(0)
	s_barrier
	s_waitcnt lgkmcnt(0)
	; wave barrier
	s_waitcnt vmcnt(12)
	v_xor_b32_e32 v7, 0x80000000, v7
	v_lshrrev_b64 v[28:29], s68, v[6:7]
	v_and_b32_e32 v34, s9, v28
	s_waitcnt vmcnt(11)
	v_mad_u64_u32 v[28:29], s[0:1], v33, v5, v[2:3]
	v_and_b32_e32 v33, 1, v34
	v_lshrrev_b32_e32 v39, 6, v28
	v_add_co_u32_e32 v28, vcc, -1, v33
	v_lshlrev_b32_e32 v5, 30, v34
	v_addc_co_u32_e64 v35, s[0:1], 0, -1, vcc
	v_lshl_add_u32 v29, v34, 2, v34
	v_cmp_ne_u32_e32 vcc, 0, v33
	v_cmp_gt_i64_e64 s[0:1], 0, v[4:5]
	v_not_b32_e32 v36, v5
	v_lshlrev_b32_e32 v5, 29, v34
	v_add_lshl_u32 v33, v39, v29, 2
	v_xor_b32_e32 v29, vcc_hi, v35
	v_xor_b32_e32 v28, vcc_lo, v28
	v_ashrrev_i32_e32 v35, 31, v36
	v_cmp_gt_i64_e32 vcc, 0, v[4:5]
	v_not_b32_e32 v36, v5
	v_lshlrev_b32_e32 v5, 28, v34
	v_and_b32_e32 v29, exec_hi, v29
	v_and_b32_e32 v28, exec_lo, v28
	v_xor_b32_e32 v37, s1, v35
	v_xor_b32_e32 v35, s0, v35
	v_ashrrev_i32_e32 v36, 31, v36
	v_cmp_gt_i64_e64 s[0:1], 0, v[4:5]
	v_not_b32_e32 v5, v5
	v_and_b32_e32 v29, v29, v37
	v_and_b32_e32 v28, v28, v35
	v_xor_b32_e32 v35, vcc_hi, v36
	v_xor_b32_e32 v36, vcc_lo, v36
	v_ashrrev_i32_e32 v5, 31, v5
	v_and_b32_e32 v29, v29, v35
	v_and_b32_e32 v28, v28, v36
	v_xor_b32_e32 v35, s1, v5
	v_xor_b32_e32 v5, s0, v5
	v_and_b32_e32 v28, v28, v5
	v_lshlrev_b32_e32 v5, 27, v34
	v_cmp_gt_i64_e32 vcc, 0, v[4:5]
	v_not_b32_e32 v5, v5
	v_ashrrev_i32_e32 v5, 31, v5
	v_and_b32_e32 v29, v29, v35
	v_xor_b32_e32 v35, vcc_hi, v5
	v_xor_b32_e32 v5, vcc_lo, v5
	v_and_b32_e32 v28, v28, v5
	v_lshlrev_b32_e32 v5, 26, v34
	v_cmp_gt_i64_e32 vcc, 0, v[4:5]
	v_not_b32_e32 v5, v5
	v_ashrrev_i32_e32 v5, 31, v5
	v_and_b32_e32 v29, v29, v35
	v_xor_b32_e32 v35, vcc_hi, v5
	v_xor_b32_e32 v5, vcc_lo, v5
	;; [unrolled: 8-line block ×3, first 2 shown]
	v_and_b32_e32 v28, v28, v5
	v_lshlrev_b32_e32 v5, 24, v34
	v_cmp_gt_i64_e32 vcc, 0, v[4:5]
	v_not_b32_e32 v5, v5
	v_ashrrev_i32_e32 v5, 31, v5
	v_xor_b32_e32 v34, vcc_hi, v5
	v_xor_b32_e32 v5, vcc_lo, v5
	v_and_b32_e32 v29, v29, v35
	v_and_b32_e32 v28, v28, v5
	;; [unrolled: 1-line block ×3, first 2 shown]
	v_mbcnt_lo_u32_b32 v5, v28, 0
	v_mbcnt_hi_u32_b32 v34, v29, v5
	v_cmp_eq_u32_e32 vcc, 0, v34
	v_cmp_ne_u64_e64 s[0:1], 0, v[28:29]
	s_and_b64 s[2:3], s[0:1], vcc
	s_and_saveexec_b64 s[0:1], s[2:3]
	s_cbranch_execz .LBB24_132
; %bb.131:
	v_bcnt_u32_b32 v5, v28, 0
	v_bcnt_u32_b32 v5, v29, v5
	ds_write_b32 v33, v5 offset:16
.LBB24_132:
	s_or_b64 exec, exec, s[0:1]
	s_waitcnt vmcnt(10)
	v_xor_b32_e32 v27, 0x80000000, v27
	v_lshrrev_b64 v[28:29], s68, v[26:27]
	v_and_b32_e32 v28, s9, v28
	v_lshl_add_u32 v5, v28, 2, v28
	v_add_lshl_u32 v36, v39, v5, 2
	v_and_b32_e32 v5, 1, v28
	v_add_co_u32_e32 v29, vcc, -1, v5
	v_addc_co_u32_e64 v37, s[0:1], 0, -1, vcc
	v_cmp_ne_u32_e32 vcc, 0, v5
	v_xor_b32_e32 v5, vcc_hi, v37
	v_and_b32_e32 v37, exec_hi, v5
	v_lshlrev_b32_e32 v5, 30, v28
	v_xor_b32_e32 v29, vcc_lo, v29
	v_cmp_gt_i64_e32 vcc, 0, v[4:5]
	v_not_b32_e32 v5, v5
	v_ashrrev_i32_e32 v5, 31, v5
	v_and_b32_e32 v29, exec_lo, v29
	v_xor_b32_e32 v38, vcc_hi, v5
	v_xor_b32_e32 v5, vcc_lo, v5
	v_and_b32_e32 v29, v29, v5
	v_lshlrev_b32_e32 v5, 29, v28
	v_cmp_gt_i64_e32 vcc, 0, v[4:5]
	v_not_b32_e32 v5, v5
	v_ashrrev_i32_e32 v5, 31, v5
	v_and_b32_e32 v37, v37, v38
	v_xor_b32_e32 v38, vcc_hi, v5
	v_xor_b32_e32 v5, vcc_lo, v5
	v_and_b32_e32 v29, v29, v5
	v_lshlrev_b32_e32 v5, 28, v28
	v_cmp_gt_i64_e32 vcc, 0, v[4:5]
	v_not_b32_e32 v5, v5
	v_ashrrev_i32_e32 v5, 31, v5
	v_and_b32_e32 v37, v37, v38
	;; [unrolled: 8-line block ×5, first 2 shown]
	v_xor_b32_e32 v38, vcc_hi, v5
	v_xor_b32_e32 v5, vcc_lo, v5
	v_and_b32_e32 v29, v29, v5
	v_lshlrev_b32_e32 v5, 24, v28
	v_cmp_gt_i64_e32 vcc, 0, v[4:5]
	v_not_b32_e32 v4, v5
	v_ashrrev_i32_e32 v4, 31, v4
	v_xor_b32_e32 v5, vcc_hi, v4
	v_xor_b32_e32 v4, vcc_lo, v4
	; wave barrier
	ds_read_b32 v35, v36 offset:16
	v_and_b32_e32 v37, v37, v38
	v_and_b32_e32 v4, v29, v4
	;; [unrolled: 1-line block ×3, first 2 shown]
	v_mbcnt_lo_u32_b32 v28, v4, 0
	v_mbcnt_hi_u32_b32 v37, v5, v28
	v_cmp_eq_u32_e32 vcc, 0, v37
	v_cmp_ne_u64_e64 s[0:1], 0, v[4:5]
	s_and_b64 s[2:3], s[0:1], vcc
	; wave barrier
	s_and_saveexec_b64 s[0:1], s[2:3]
	s_cbranch_execz .LBB24_134
; %bb.133:
	v_bcnt_u32_b32 v4, v4, 0
	v_bcnt_u32_b32 v4, v5, v4
	s_waitcnt lgkmcnt(0)
	v_add_u32_e32 v4, v35, v4
	ds_write_b32 v36, v4 offset:16
.LBB24_134:
	s_or_b64 exec, exec, s[0:1]
	s_waitcnt vmcnt(9)
	v_xor_b32_e32 v25, 0x80000000, v25
	v_lshrrev_b64 v[4:5], s68, v[24:25]
	v_and_b32_e32 v28, s9, v4
	v_and_b32_e32 v5, 1, v28
	v_add_co_u32_e32 v29, vcc, -1, v5
	v_addc_co_u32_e64 v41, s[0:1], 0, -1, vcc
	v_cmp_ne_u32_e32 vcc, 0, v5
	v_lshl_add_u32 v4, v28, 2, v28
	v_xor_b32_e32 v5, vcc_hi, v41
	v_add_lshl_u32 v40, v39, v4, 2
	v_mov_b32_e32 v4, 0
	v_and_b32_e32 v41, exec_hi, v5
	v_lshlrev_b32_e32 v5, 30, v28
	v_xor_b32_e32 v29, vcc_lo, v29
	v_cmp_gt_i64_e32 vcc, 0, v[4:5]
	v_not_b32_e32 v5, v5
	v_ashrrev_i32_e32 v5, 31, v5
	v_and_b32_e32 v29, exec_lo, v29
	v_xor_b32_e32 v42, vcc_hi, v5
	v_xor_b32_e32 v5, vcc_lo, v5
	v_and_b32_e32 v29, v29, v5
	v_lshlrev_b32_e32 v5, 29, v28
	v_cmp_gt_i64_e32 vcc, 0, v[4:5]
	v_not_b32_e32 v5, v5
	v_ashrrev_i32_e32 v5, 31, v5
	v_and_b32_e32 v41, v41, v42
	v_xor_b32_e32 v42, vcc_hi, v5
	v_xor_b32_e32 v5, vcc_lo, v5
	v_and_b32_e32 v29, v29, v5
	v_lshlrev_b32_e32 v5, 28, v28
	v_cmp_gt_i64_e32 vcc, 0, v[4:5]
	v_not_b32_e32 v5, v5
	v_ashrrev_i32_e32 v5, 31, v5
	v_and_b32_e32 v41, v41, v42
	;; [unrolled: 8-line block ×5, first 2 shown]
	v_xor_b32_e32 v42, vcc_hi, v5
	v_xor_b32_e32 v5, vcc_lo, v5
	v_and_b32_e32 v41, v41, v42
	v_and_b32_e32 v42, v29, v5
	v_lshlrev_b32_e32 v5, 24, v28
	v_cmp_gt_i64_e32 vcc, 0, v[4:5]
	v_not_b32_e32 v5, v5
	v_ashrrev_i32_e32 v5, 31, v5
	v_xor_b32_e32 v28, vcc_hi, v5
	v_xor_b32_e32 v5, vcc_lo, v5
	; wave barrier
	ds_read_b32 v38, v40 offset:16
	v_and_b32_e32 v29, v41, v28
	v_and_b32_e32 v28, v42, v5
	v_mbcnt_lo_u32_b32 v5, v28, 0
	v_mbcnt_hi_u32_b32 v41, v29, v5
	v_cmp_eq_u32_e32 vcc, 0, v41
	v_cmp_ne_u64_e64 s[0:1], 0, v[28:29]
	s_and_b64 s[2:3], s[0:1], vcc
	; wave barrier
	s_and_saveexec_b64 s[0:1], s[2:3]
	s_cbranch_execz .LBB24_136
; %bb.135:
	v_bcnt_u32_b32 v5, v28, 0
	v_bcnt_u32_b32 v5, v29, v5
	s_waitcnt lgkmcnt(0)
	v_add_u32_e32 v5, v38, v5
	ds_write_b32 v40, v5 offset:16
.LBB24_136:
	s_or_b64 exec, exec, s[0:1]
	s_waitcnt vmcnt(8)
	v_xor_b32_e32 v23, 0x80000000, v23
	v_lshrrev_b64 v[28:29], s68, v[22:23]
	v_and_b32_e32 v28, s9, v28
	v_lshl_add_u32 v5, v28, 2, v28
	v_add_lshl_u32 v43, v39, v5, 2
	v_and_b32_e32 v5, 1, v28
	v_add_co_u32_e32 v29, vcc, -1, v5
	v_addc_co_u32_e64 v44, s[0:1], 0, -1, vcc
	v_cmp_ne_u32_e32 vcc, 0, v5
	v_xor_b32_e32 v5, vcc_hi, v44
	v_and_b32_e32 v44, exec_hi, v5
	v_lshlrev_b32_e32 v5, 30, v28
	v_xor_b32_e32 v29, vcc_lo, v29
	v_cmp_gt_i64_e32 vcc, 0, v[4:5]
	v_not_b32_e32 v5, v5
	v_ashrrev_i32_e32 v5, 31, v5
	v_and_b32_e32 v29, exec_lo, v29
	v_xor_b32_e32 v45, vcc_hi, v5
	v_xor_b32_e32 v5, vcc_lo, v5
	v_and_b32_e32 v29, v29, v5
	v_lshlrev_b32_e32 v5, 29, v28
	v_cmp_gt_i64_e32 vcc, 0, v[4:5]
	v_not_b32_e32 v5, v5
	v_ashrrev_i32_e32 v5, 31, v5
	v_and_b32_e32 v44, v44, v45
	v_xor_b32_e32 v45, vcc_hi, v5
	v_xor_b32_e32 v5, vcc_lo, v5
	v_and_b32_e32 v29, v29, v5
	v_lshlrev_b32_e32 v5, 28, v28
	v_cmp_gt_i64_e32 vcc, 0, v[4:5]
	v_not_b32_e32 v5, v5
	v_ashrrev_i32_e32 v5, 31, v5
	v_and_b32_e32 v44, v44, v45
	;; [unrolled: 8-line block ×5, first 2 shown]
	v_xor_b32_e32 v45, vcc_hi, v5
	v_xor_b32_e32 v5, vcc_lo, v5
	v_and_b32_e32 v29, v29, v5
	v_lshlrev_b32_e32 v5, 24, v28
	v_cmp_gt_i64_e32 vcc, 0, v[4:5]
	v_not_b32_e32 v4, v5
	v_ashrrev_i32_e32 v4, 31, v4
	v_xor_b32_e32 v5, vcc_hi, v4
	v_xor_b32_e32 v4, vcc_lo, v4
	; wave barrier
	ds_read_b32 v42, v43 offset:16
	v_and_b32_e32 v44, v44, v45
	v_and_b32_e32 v4, v29, v4
	;; [unrolled: 1-line block ×3, first 2 shown]
	v_mbcnt_lo_u32_b32 v28, v4, 0
	v_mbcnt_hi_u32_b32 v44, v5, v28
	v_cmp_eq_u32_e32 vcc, 0, v44
	v_cmp_ne_u64_e64 s[0:1], 0, v[4:5]
	s_and_b64 s[2:3], s[0:1], vcc
	; wave barrier
	s_and_saveexec_b64 s[0:1], s[2:3]
	s_cbranch_execz .LBB24_138
; %bb.137:
	v_bcnt_u32_b32 v4, v4, 0
	v_bcnt_u32_b32 v4, v5, v4
	s_waitcnt lgkmcnt(0)
	v_add_u32_e32 v4, v42, v4
	ds_write_b32 v43, v4 offset:16
.LBB24_138:
	s_or_b64 exec, exec, s[0:1]
	s_waitcnt vmcnt(7)
	v_xor_b32_e32 v21, 0x80000000, v21
	v_lshrrev_b64 v[4:5], s68, v[20:21]
	v_and_b32_e32 v28, s9, v4
	v_and_b32_e32 v5, 1, v28
	v_add_co_u32_e32 v29, vcc, -1, v5
	v_addc_co_u32_e64 v47, s[0:1], 0, -1, vcc
	v_cmp_ne_u32_e32 vcc, 0, v5
	v_lshl_add_u32 v4, v28, 2, v28
	v_xor_b32_e32 v5, vcc_hi, v47
	v_add_lshl_u32 v46, v39, v4, 2
	v_mov_b32_e32 v4, 0
	v_and_b32_e32 v47, exec_hi, v5
	v_lshlrev_b32_e32 v5, 30, v28
	v_xor_b32_e32 v29, vcc_lo, v29
	v_cmp_gt_i64_e32 vcc, 0, v[4:5]
	v_not_b32_e32 v5, v5
	v_ashrrev_i32_e32 v5, 31, v5
	v_and_b32_e32 v29, exec_lo, v29
	v_xor_b32_e32 v48, vcc_hi, v5
	v_xor_b32_e32 v5, vcc_lo, v5
	v_and_b32_e32 v29, v29, v5
	v_lshlrev_b32_e32 v5, 29, v28
	v_cmp_gt_i64_e32 vcc, 0, v[4:5]
	v_not_b32_e32 v5, v5
	v_ashrrev_i32_e32 v5, 31, v5
	v_and_b32_e32 v47, v47, v48
	v_xor_b32_e32 v48, vcc_hi, v5
	v_xor_b32_e32 v5, vcc_lo, v5
	v_and_b32_e32 v29, v29, v5
	v_lshlrev_b32_e32 v5, 28, v28
	v_cmp_gt_i64_e32 vcc, 0, v[4:5]
	v_not_b32_e32 v5, v5
	v_ashrrev_i32_e32 v5, 31, v5
	v_and_b32_e32 v47, v47, v48
	;; [unrolled: 8-line block ×5, first 2 shown]
	v_xor_b32_e32 v48, vcc_hi, v5
	v_xor_b32_e32 v5, vcc_lo, v5
	v_and_b32_e32 v47, v47, v48
	v_and_b32_e32 v48, v29, v5
	v_lshlrev_b32_e32 v5, 24, v28
	v_cmp_gt_i64_e32 vcc, 0, v[4:5]
	v_not_b32_e32 v5, v5
	v_ashrrev_i32_e32 v5, 31, v5
	v_xor_b32_e32 v28, vcc_hi, v5
	v_xor_b32_e32 v5, vcc_lo, v5
	; wave barrier
	ds_read_b32 v45, v46 offset:16
	v_and_b32_e32 v29, v47, v28
	v_and_b32_e32 v28, v48, v5
	v_mbcnt_lo_u32_b32 v5, v28, 0
	v_mbcnt_hi_u32_b32 v47, v29, v5
	v_cmp_eq_u32_e32 vcc, 0, v47
	v_cmp_ne_u64_e64 s[0:1], 0, v[28:29]
	s_and_b64 s[2:3], s[0:1], vcc
	; wave barrier
	s_and_saveexec_b64 s[0:1], s[2:3]
	s_cbranch_execz .LBB24_140
; %bb.139:
	v_bcnt_u32_b32 v5, v28, 0
	v_bcnt_u32_b32 v5, v29, v5
	s_waitcnt lgkmcnt(0)
	v_add_u32_e32 v5, v45, v5
	ds_write_b32 v46, v5 offset:16
.LBB24_140:
	s_or_b64 exec, exec, s[0:1]
	s_waitcnt vmcnt(6)
	v_xor_b32_e32 v19, 0x80000000, v19
	v_lshrrev_b64 v[28:29], s68, v[18:19]
	v_and_b32_e32 v28, s9, v28
	v_lshl_add_u32 v5, v28, 2, v28
	v_add_lshl_u32 v49, v39, v5, 2
	v_and_b32_e32 v5, 1, v28
	v_add_co_u32_e32 v29, vcc, -1, v5
	v_addc_co_u32_e64 v50, s[0:1], 0, -1, vcc
	v_cmp_ne_u32_e32 vcc, 0, v5
	v_xor_b32_e32 v5, vcc_hi, v50
	v_and_b32_e32 v50, exec_hi, v5
	v_lshlrev_b32_e32 v5, 30, v28
	v_xor_b32_e32 v29, vcc_lo, v29
	v_cmp_gt_i64_e32 vcc, 0, v[4:5]
	v_not_b32_e32 v5, v5
	v_ashrrev_i32_e32 v5, 31, v5
	v_and_b32_e32 v29, exec_lo, v29
	v_xor_b32_e32 v51, vcc_hi, v5
	v_xor_b32_e32 v5, vcc_lo, v5
	v_and_b32_e32 v29, v29, v5
	v_lshlrev_b32_e32 v5, 29, v28
	v_cmp_gt_i64_e32 vcc, 0, v[4:5]
	v_not_b32_e32 v5, v5
	v_ashrrev_i32_e32 v5, 31, v5
	v_and_b32_e32 v50, v50, v51
	v_xor_b32_e32 v51, vcc_hi, v5
	v_xor_b32_e32 v5, vcc_lo, v5
	v_and_b32_e32 v29, v29, v5
	v_lshlrev_b32_e32 v5, 28, v28
	v_cmp_gt_i64_e32 vcc, 0, v[4:5]
	v_not_b32_e32 v5, v5
	v_ashrrev_i32_e32 v5, 31, v5
	v_and_b32_e32 v50, v50, v51
	;; [unrolled: 8-line block ×5, first 2 shown]
	v_xor_b32_e32 v51, vcc_hi, v5
	v_xor_b32_e32 v5, vcc_lo, v5
	v_and_b32_e32 v29, v29, v5
	v_lshlrev_b32_e32 v5, 24, v28
	v_cmp_gt_i64_e32 vcc, 0, v[4:5]
	v_not_b32_e32 v4, v5
	v_ashrrev_i32_e32 v4, 31, v4
	v_xor_b32_e32 v5, vcc_hi, v4
	v_xor_b32_e32 v4, vcc_lo, v4
	; wave barrier
	ds_read_b32 v48, v49 offset:16
	v_and_b32_e32 v50, v50, v51
	v_and_b32_e32 v4, v29, v4
	;; [unrolled: 1-line block ×3, first 2 shown]
	v_mbcnt_lo_u32_b32 v28, v4, 0
	v_mbcnt_hi_u32_b32 v50, v5, v28
	v_cmp_eq_u32_e32 vcc, 0, v50
	v_cmp_ne_u64_e64 s[0:1], 0, v[4:5]
	s_and_b64 s[2:3], s[0:1], vcc
	; wave barrier
	s_and_saveexec_b64 s[0:1], s[2:3]
	s_cbranch_execz .LBB24_142
; %bb.141:
	v_bcnt_u32_b32 v4, v4, 0
	v_bcnt_u32_b32 v4, v5, v4
	s_waitcnt lgkmcnt(0)
	v_add_u32_e32 v4, v48, v4
	ds_write_b32 v49, v4 offset:16
.LBB24_142:
	s_or_b64 exec, exec, s[0:1]
	s_waitcnt vmcnt(5)
	v_xor_b32_e32 v17, 0x80000000, v17
	v_lshrrev_b64 v[4:5], s68, v[16:17]
	v_and_b32_e32 v28, s9, v4
	v_and_b32_e32 v5, 1, v28
	v_add_co_u32_e32 v29, vcc, -1, v5
	v_addc_co_u32_e64 v53, s[0:1], 0, -1, vcc
	v_cmp_ne_u32_e32 vcc, 0, v5
	v_lshl_add_u32 v4, v28, 2, v28
	v_xor_b32_e32 v5, vcc_hi, v53
	v_add_lshl_u32 v52, v39, v4, 2
	v_mov_b32_e32 v4, 0
	v_and_b32_e32 v53, exec_hi, v5
	v_lshlrev_b32_e32 v5, 30, v28
	v_xor_b32_e32 v29, vcc_lo, v29
	v_cmp_gt_i64_e32 vcc, 0, v[4:5]
	v_not_b32_e32 v5, v5
	v_ashrrev_i32_e32 v5, 31, v5
	v_and_b32_e32 v29, exec_lo, v29
	v_xor_b32_e32 v54, vcc_hi, v5
	v_xor_b32_e32 v5, vcc_lo, v5
	v_and_b32_e32 v29, v29, v5
	v_lshlrev_b32_e32 v5, 29, v28
	v_cmp_gt_i64_e32 vcc, 0, v[4:5]
	v_not_b32_e32 v5, v5
	v_ashrrev_i32_e32 v5, 31, v5
	v_and_b32_e32 v53, v53, v54
	v_xor_b32_e32 v54, vcc_hi, v5
	v_xor_b32_e32 v5, vcc_lo, v5
	v_and_b32_e32 v29, v29, v5
	v_lshlrev_b32_e32 v5, 28, v28
	v_cmp_gt_i64_e32 vcc, 0, v[4:5]
	v_not_b32_e32 v5, v5
	v_ashrrev_i32_e32 v5, 31, v5
	v_and_b32_e32 v53, v53, v54
	;; [unrolled: 8-line block ×5, first 2 shown]
	v_xor_b32_e32 v54, vcc_hi, v5
	v_xor_b32_e32 v5, vcc_lo, v5
	v_and_b32_e32 v53, v53, v54
	v_and_b32_e32 v54, v29, v5
	v_lshlrev_b32_e32 v5, 24, v28
	v_cmp_gt_i64_e32 vcc, 0, v[4:5]
	v_not_b32_e32 v5, v5
	v_ashrrev_i32_e32 v5, 31, v5
	v_xor_b32_e32 v28, vcc_hi, v5
	v_xor_b32_e32 v5, vcc_lo, v5
	; wave barrier
	ds_read_b32 v51, v52 offset:16
	v_and_b32_e32 v29, v53, v28
	v_and_b32_e32 v28, v54, v5
	v_mbcnt_lo_u32_b32 v5, v28, 0
	v_mbcnt_hi_u32_b32 v53, v29, v5
	v_cmp_eq_u32_e32 vcc, 0, v53
	v_cmp_ne_u64_e64 s[0:1], 0, v[28:29]
	s_and_b64 s[2:3], s[0:1], vcc
	; wave barrier
	s_and_saveexec_b64 s[0:1], s[2:3]
	s_cbranch_execz .LBB24_144
; %bb.143:
	v_bcnt_u32_b32 v5, v28, 0
	v_bcnt_u32_b32 v5, v29, v5
	s_waitcnt lgkmcnt(0)
	v_add_u32_e32 v5, v51, v5
	ds_write_b32 v52, v5 offset:16
.LBB24_144:
	s_or_b64 exec, exec, s[0:1]
	s_waitcnt vmcnt(4)
	v_xor_b32_e32 v13, 0x80000000, v13
	v_lshrrev_b64 v[28:29], s68, v[12:13]
	v_and_b32_e32 v28, s9, v28
	v_lshl_add_u32 v5, v28, 2, v28
	v_add_lshl_u32 v55, v39, v5, 2
	v_and_b32_e32 v5, 1, v28
	v_add_co_u32_e32 v29, vcc, -1, v5
	v_addc_co_u32_e64 v56, s[0:1], 0, -1, vcc
	v_cmp_ne_u32_e32 vcc, 0, v5
	v_xor_b32_e32 v5, vcc_hi, v56
	v_and_b32_e32 v56, exec_hi, v5
	v_lshlrev_b32_e32 v5, 30, v28
	v_xor_b32_e32 v29, vcc_lo, v29
	v_cmp_gt_i64_e32 vcc, 0, v[4:5]
	v_not_b32_e32 v5, v5
	v_ashrrev_i32_e32 v5, 31, v5
	v_and_b32_e32 v29, exec_lo, v29
	v_xor_b32_e32 v57, vcc_hi, v5
	v_xor_b32_e32 v5, vcc_lo, v5
	v_and_b32_e32 v29, v29, v5
	v_lshlrev_b32_e32 v5, 29, v28
	v_cmp_gt_i64_e32 vcc, 0, v[4:5]
	v_not_b32_e32 v5, v5
	v_ashrrev_i32_e32 v5, 31, v5
	v_and_b32_e32 v56, v56, v57
	v_xor_b32_e32 v57, vcc_hi, v5
	v_xor_b32_e32 v5, vcc_lo, v5
	v_and_b32_e32 v29, v29, v5
	v_lshlrev_b32_e32 v5, 28, v28
	v_cmp_gt_i64_e32 vcc, 0, v[4:5]
	v_not_b32_e32 v5, v5
	v_ashrrev_i32_e32 v5, 31, v5
	v_and_b32_e32 v56, v56, v57
	;; [unrolled: 8-line block ×5, first 2 shown]
	v_xor_b32_e32 v57, vcc_hi, v5
	v_xor_b32_e32 v5, vcc_lo, v5
	v_and_b32_e32 v29, v29, v5
	v_lshlrev_b32_e32 v5, 24, v28
	v_cmp_gt_i64_e32 vcc, 0, v[4:5]
	v_not_b32_e32 v4, v5
	v_ashrrev_i32_e32 v4, 31, v4
	v_xor_b32_e32 v5, vcc_hi, v4
	v_xor_b32_e32 v4, vcc_lo, v4
	; wave barrier
	ds_read_b32 v54, v55 offset:16
	v_and_b32_e32 v56, v56, v57
	v_and_b32_e32 v4, v29, v4
	v_and_b32_e32 v5, v56, v5
	v_mbcnt_lo_u32_b32 v28, v4, 0
	v_mbcnt_hi_u32_b32 v56, v5, v28
	v_cmp_eq_u32_e32 vcc, 0, v56
	v_cmp_ne_u64_e64 s[0:1], 0, v[4:5]
	s_and_b64 s[2:3], s[0:1], vcc
	; wave barrier
	s_and_saveexec_b64 s[0:1], s[2:3]
	s_cbranch_execz .LBB24_146
; %bb.145:
	v_bcnt_u32_b32 v4, v4, 0
	v_bcnt_u32_b32 v4, v5, v4
	s_waitcnt lgkmcnt(0)
	v_add_u32_e32 v4, v54, v4
	ds_write_b32 v55, v4 offset:16
.LBB24_146:
	s_or_b64 exec, exec, s[0:1]
	s_waitcnt vmcnt(3)
	v_xor_b32_e32 v15, 0x80000000, v15
	v_lshrrev_b64 v[4:5], s68, v[14:15]
	v_and_b32_e32 v28, s9, v4
	v_and_b32_e32 v5, 1, v28
	v_add_co_u32_e32 v29, vcc, -1, v5
	v_addc_co_u32_e64 v59, s[0:1], 0, -1, vcc
	v_cmp_ne_u32_e32 vcc, 0, v5
	v_lshl_add_u32 v4, v28, 2, v28
	v_xor_b32_e32 v5, vcc_hi, v59
	v_add_lshl_u32 v58, v39, v4, 2
	v_mov_b32_e32 v4, 0
	v_and_b32_e32 v59, exec_hi, v5
	v_lshlrev_b32_e32 v5, 30, v28
	v_xor_b32_e32 v29, vcc_lo, v29
	v_cmp_gt_i64_e32 vcc, 0, v[4:5]
	v_not_b32_e32 v5, v5
	v_ashrrev_i32_e32 v5, 31, v5
	v_and_b32_e32 v29, exec_lo, v29
	v_xor_b32_e32 v60, vcc_hi, v5
	v_xor_b32_e32 v5, vcc_lo, v5
	v_and_b32_e32 v29, v29, v5
	v_lshlrev_b32_e32 v5, 29, v28
	v_cmp_gt_i64_e32 vcc, 0, v[4:5]
	v_not_b32_e32 v5, v5
	v_ashrrev_i32_e32 v5, 31, v5
	v_and_b32_e32 v59, v59, v60
	v_xor_b32_e32 v60, vcc_hi, v5
	v_xor_b32_e32 v5, vcc_lo, v5
	v_and_b32_e32 v29, v29, v5
	v_lshlrev_b32_e32 v5, 28, v28
	v_cmp_gt_i64_e32 vcc, 0, v[4:5]
	v_not_b32_e32 v5, v5
	v_ashrrev_i32_e32 v5, 31, v5
	v_and_b32_e32 v59, v59, v60
	;; [unrolled: 8-line block ×5, first 2 shown]
	v_xor_b32_e32 v60, vcc_hi, v5
	v_xor_b32_e32 v5, vcc_lo, v5
	v_and_b32_e32 v59, v59, v60
	v_and_b32_e32 v60, v29, v5
	v_lshlrev_b32_e32 v5, 24, v28
	v_cmp_gt_i64_e32 vcc, 0, v[4:5]
	v_not_b32_e32 v5, v5
	v_ashrrev_i32_e32 v5, 31, v5
	v_xor_b32_e32 v28, vcc_hi, v5
	v_xor_b32_e32 v5, vcc_lo, v5
	; wave barrier
	ds_read_b32 v57, v58 offset:16
	v_and_b32_e32 v29, v59, v28
	v_and_b32_e32 v28, v60, v5
	v_mbcnt_lo_u32_b32 v5, v28, 0
	v_mbcnt_hi_u32_b32 v59, v29, v5
	v_cmp_eq_u32_e32 vcc, 0, v59
	v_cmp_ne_u64_e64 s[0:1], 0, v[28:29]
	s_and_b64 s[2:3], s[0:1], vcc
	; wave barrier
	s_and_saveexec_b64 s[0:1], s[2:3]
	s_cbranch_execz .LBB24_148
; %bb.147:
	v_bcnt_u32_b32 v5, v28, 0
	v_bcnt_u32_b32 v5, v29, v5
	s_waitcnt lgkmcnt(0)
	v_add_u32_e32 v5, v57, v5
	ds_write_b32 v58, v5 offset:16
.LBB24_148:
	s_or_b64 exec, exec, s[0:1]
	s_waitcnt vmcnt(2)
	v_xor_b32_e32 v11, 0x80000000, v11
	v_lshrrev_b64 v[28:29], s68, v[10:11]
	v_and_b32_e32 v28, s9, v28
	v_lshl_add_u32 v5, v28, 2, v28
	v_add_lshl_u32 v61, v39, v5, 2
	v_and_b32_e32 v5, 1, v28
	v_add_co_u32_e32 v29, vcc, -1, v5
	v_addc_co_u32_e64 v62, s[0:1], 0, -1, vcc
	v_cmp_ne_u32_e32 vcc, 0, v5
	v_xor_b32_e32 v5, vcc_hi, v62
	v_and_b32_e32 v62, exec_hi, v5
	v_lshlrev_b32_e32 v5, 30, v28
	v_xor_b32_e32 v29, vcc_lo, v29
	v_cmp_gt_i64_e32 vcc, 0, v[4:5]
	v_not_b32_e32 v5, v5
	v_ashrrev_i32_e32 v5, 31, v5
	v_and_b32_e32 v29, exec_lo, v29
	v_xor_b32_e32 v63, vcc_hi, v5
	v_xor_b32_e32 v5, vcc_lo, v5
	v_and_b32_e32 v29, v29, v5
	v_lshlrev_b32_e32 v5, 29, v28
	v_cmp_gt_i64_e32 vcc, 0, v[4:5]
	v_not_b32_e32 v5, v5
	v_ashrrev_i32_e32 v5, 31, v5
	v_and_b32_e32 v62, v62, v63
	v_xor_b32_e32 v63, vcc_hi, v5
	v_xor_b32_e32 v5, vcc_lo, v5
	v_and_b32_e32 v29, v29, v5
	v_lshlrev_b32_e32 v5, 28, v28
	v_cmp_gt_i64_e32 vcc, 0, v[4:5]
	v_not_b32_e32 v5, v5
	v_ashrrev_i32_e32 v5, 31, v5
	v_and_b32_e32 v62, v62, v63
	;; [unrolled: 8-line block ×5, first 2 shown]
	v_xor_b32_e32 v63, vcc_hi, v5
	v_xor_b32_e32 v5, vcc_lo, v5
	v_and_b32_e32 v29, v29, v5
	v_lshlrev_b32_e32 v5, 24, v28
	v_cmp_gt_i64_e32 vcc, 0, v[4:5]
	v_not_b32_e32 v4, v5
	v_ashrrev_i32_e32 v4, 31, v4
	v_xor_b32_e32 v5, vcc_hi, v4
	v_xor_b32_e32 v4, vcc_lo, v4
	; wave barrier
	ds_read_b32 v60, v61 offset:16
	v_and_b32_e32 v62, v62, v63
	v_and_b32_e32 v4, v29, v4
	v_and_b32_e32 v5, v62, v5
	v_mbcnt_lo_u32_b32 v28, v4, 0
	v_mbcnt_hi_u32_b32 v62, v5, v28
	v_cmp_eq_u32_e32 vcc, 0, v62
	v_cmp_ne_u64_e64 s[0:1], 0, v[4:5]
	s_and_b64 s[2:3], s[0:1], vcc
	; wave barrier
	s_and_saveexec_b64 s[0:1], s[2:3]
	s_cbranch_execz .LBB24_150
; %bb.149:
	v_bcnt_u32_b32 v4, v4, 0
	v_bcnt_u32_b32 v4, v5, v4
	s_waitcnt lgkmcnt(0)
	v_add_u32_e32 v4, v60, v4
	ds_write_b32 v61, v4 offset:16
.LBB24_150:
	s_or_b64 exec, exec, s[0:1]
	s_waitcnt vmcnt(1)
	v_xor_b32_e32 v9, 0x80000000, v9
	v_lshrrev_b64 v[4:5], s68, v[8:9]
	v_and_b32_e32 v28, s9, v4
	v_and_b32_e32 v5, 1, v28
	v_add_co_u32_e32 v29, vcc, -1, v5
	v_addc_co_u32_e64 v65, s[0:1], 0, -1, vcc
	v_cmp_ne_u32_e32 vcc, 0, v5
	v_lshl_add_u32 v4, v28, 2, v28
	v_xor_b32_e32 v5, vcc_hi, v65
	v_add_lshl_u32 v64, v39, v4, 2
	v_mov_b32_e32 v4, 0
	v_and_b32_e32 v65, exec_hi, v5
	v_lshlrev_b32_e32 v5, 30, v28
	v_xor_b32_e32 v29, vcc_lo, v29
	v_cmp_gt_i64_e32 vcc, 0, v[4:5]
	v_not_b32_e32 v5, v5
	v_ashrrev_i32_e32 v5, 31, v5
	v_and_b32_e32 v29, exec_lo, v29
	v_xor_b32_e32 v66, vcc_hi, v5
	v_xor_b32_e32 v5, vcc_lo, v5
	v_and_b32_e32 v29, v29, v5
	v_lshlrev_b32_e32 v5, 29, v28
	v_cmp_gt_i64_e32 vcc, 0, v[4:5]
	v_not_b32_e32 v5, v5
	v_ashrrev_i32_e32 v5, 31, v5
	v_and_b32_e32 v65, v65, v66
	v_xor_b32_e32 v66, vcc_hi, v5
	v_xor_b32_e32 v5, vcc_lo, v5
	v_and_b32_e32 v29, v29, v5
	v_lshlrev_b32_e32 v5, 28, v28
	v_cmp_gt_i64_e32 vcc, 0, v[4:5]
	v_not_b32_e32 v5, v5
	v_ashrrev_i32_e32 v5, 31, v5
	v_and_b32_e32 v65, v65, v66
	;; [unrolled: 8-line block ×5, first 2 shown]
	v_xor_b32_e32 v66, vcc_hi, v5
	v_xor_b32_e32 v5, vcc_lo, v5
	v_and_b32_e32 v65, v65, v66
	v_and_b32_e32 v66, v29, v5
	v_lshlrev_b32_e32 v5, 24, v28
	v_cmp_gt_i64_e32 vcc, 0, v[4:5]
	v_not_b32_e32 v5, v5
	v_ashrrev_i32_e32 v5, 31, v5
	v_xor_b32_e32 v28, vcc_hi, v5
	v_xor_b32_e32 v5, vcc_lo, v5
	; wave barrier
	ds_read_b32 v63, v64 offset:16
	v_and_b32_e32 v29, v65, v28
	v_and_b32_e32 v28, v66, v5
	v_mbcnt_lo_u32_b32 v5, v28, 0
	v_mbcnt_hi_u32_b32 v65, v29, v5
	v_cmp_eq_u32_e32 vcc, 0, v65
	v_cmp_ne_u64_e64 s[0:1], 0, v[28:29]
	s_and_b64 s[2:3], s[0:1], vcc
	; wave barrier
	s_and_saveexec_b64 s[0:1], s[2:3]
	s_cbranch_execz .LBB24_152
; %bb.151:
	v_bcnt_u32_b32 v5, v28, 0
	v_bcnt_u32_b32 v5, v29, v5
	s_waitcnt lgkmcnt(0)
	v_add_u32_e32 v5, v63, v5
	ds_write_b32 v64, v5 offset:16
.LBB24_152:
	s_or_b64 exec, exec, s[0:1]
	s_waitcnt vmcnt(0)
	v_xor_b32_e32 v1, 0x80000000, v1
	v_lshrrev_b64 v[28:29], s68, v[0:1]
	v_and_b32_e32 v28, s9, v28
	v_lshl_add_u32 v5, v28, 2, v28
	v_add_lshl_u32 v39, v39, v5, 2
	v_and_b32_e32 v5, 1, v28
	v_add_co_u32_e32 v29, vcc, -1, v5
	v_addc_co_u32_e64 v68, s[0:1], 0, -1, vcc
	v_cmp_ne_u32_e32 vcc, 0, v5
	v_xor_b32_e32 v5, vcc_hi, v68
	v_and_b32_e32 v68, exec_hi, v5
	v_lshlrev_b32_e32 v5, 30, v28
	v_xor_b32_e32 v29, vcc_lo, v29
	v_cmp_gt_i64_e32 vcc, 0, v[4:5]
	v_not_b32_e32 v5, v5
	v_ashrrev_i32_e32 v5, 31, v5
	v_and_b32_e32 v29, exec_lo, v29
	v_xor_b32_e32 v69, vcc_hi, v5
	v_xor_b32_e32 v5, vcc_lo, v5
	v_and_b32_e32 v29, v29, v5
	v_lshlrev_b32_e32 v5, 29, v28
	v_cmp_gt_i64_e32 vcc, 0, v[4:5]
	v_not_b32_e32 v5, v5
	v_ashrrev_i32_e32 v5, 31, v5
	v_and_b32_e32 v68, v68, v69
	v_xor_b32_e32 v69, vcc_hi, v5
	v_xor_b32_e32 v5, vcc_lo, v5
	v_and_b32_e32 v29, v29, v5
	v_lshlrev_b32_e32 v5, 28, v28
	v_cmp_gt_i64_e32 vcc, 0, v[4:5]
	v_not_b32_e32 v5, v5
	v_ashrrev_i32_e32 v5, 31, v5
	v_and_b32_e32 v68, v68, v69
	v_xor_b32_e32 v69, vcc_hi, v5
	v_xor_b32_e32 v5, vcc_lo, v5
	v_and_b32_e32 v29, v29, v5
	v_lshlrev_b32_e32 v5, 27, v28
	v_cmp_gt_i64_e32 vcc, 0, v[4:5]
	v_not_b32_e32 v5, v5
	v_ashrrev_i32_e32 v5, 31, v5
	v_and_b32_e32 v68, v68, v69
	v_xor_b32_e32 v69, vcc_hi, v5
	v_xor_b32_e32 v5, vcc_lo, v5
	v_and_b32_e32 v29, v29, v5
	v_lshlrev_b32_e32 v5, 26, v28
	v_cmp_gt_i64_e32 vcc, 0, v[4:5]
	v_not_b32_e32 v5, v5
	v_ashrrev_i32_e32 v5, 31, v5
	v_and_b32_e32 v68, v68, v69
	v_xor_b32_e32 v69, vcc_hi, v5
	v_xor_b32_e32 v5, vcc_lo, v5
	v_and_b32_e32 v29, v29, v5
	v_lshlrev_b32_e32 v5, 25, v28
	v_cmp_gt_i64_e32 vcc, 0, v[4:5]
	v_not_b32_e32 v5, v5
	v_ashrrev_i32_e32 v5, 31, v5
	v_and_b32_e32 v68, v68, v69
	v_xor_b32_e32 v69, vcc_hi, v5
	v_xor_b32_e32 v5, vcc_lo, v5
	v_and_b32_e32 v29, v29, v5
	v_lshlrev_b32_e32 v5, 24, v28
	v_cmp_gt_i64_e32 vcc, 0, v[4:5]
	v_not_b32_e32 v4, v5
	v_ashrrev_i32_e32 v4, 31, v4
	v_xor_b32_e32 v5, vcc_hi, v4
	v_xor_b32_e32 v4, vcc_lo, v4
	; wave barrier
	ds_read_b32 v66, v39 offset:16
	v_and_b32_e32 v68, v68, v69
	v_and_b32_e32 v4, v29, v4
	;; [unrolled: 1-line block ×3, first 2 shown]
	v_mbcnt_lo_u32_b32 v28, v4, 0
	v_mbcnt_hi_u32_b32 v68, v5, v28
	v_cmp_eq_u32_e32 vcc, 0, v68
	v_cmp_ne_u64_e64 s[0:1], 0, v[4:5]
	v_add_u32_e32 v67, 16, v31
	s_and_b64 s[2:3], s[0:1], vcc
	; wave barrier
	s_and_saveexec_b64 s[0:1], s[2:3]
	s_cbranch_execz .LBB24_154
; %bb.153:
	v_bcnt_u32_b32 v4, v4, 0
	v_bcnt_u32_b32 v4, v5, v4
	s_waitcnt lgkmcnt(0)
	v_add_u32_e32 v4, v66, v4
	ds_write_b32 v39, v4 offset:16
.LBB24_154:
	s_or_b64 exec, exec, s[0:1]
	; wave barrier
	s_waitcnt lgkmcnt(0)
	s_barrier
	ds_read2_b32 v[28:29], v31 offset0:4 offset1:5
	ds_read2_b32 v[4:5], v67 offset0:2 offset1:3
	ds_read_b32 v69, v67 offset:16
	v_min_u32_e32 v32, 0xc0, v32
	v_or_b32_e32 v32, 63, v32
	s_waitcnt lgkmcnt(1)
	v_add3_u32 v70, v29, v28, v4
	s_waitcnt lgkmcnt(0)
	v_add3_u32 v69, v70, v5, v69
	v_and_b32_e32 v70, 15, v3
	v_cmp_ne_u32_e32 vcc, 0, v70
	v_mov_b32_dpp v71, v69 row_shr:1 row_mask:0xf bank_mask:0xf
	v_cndmask_b32_e32 v71, 0, v71, vcc
	v_add_u32_e32 v69, v71, v69
	v_cmp_lt_u32_e32 vcc, 1, v70
	s_nop 0
	v_mov_b32_dpp v71, v69 row_shr:2 row_mask:0xf bank_mask:0xf
	v_cndmask_b32_e32 v71, 0, v71, vcc
	v_add_u32_e32 v69, v69, v71
	v_cmp_lt_u32_e32 vcc, 3, v70
	s_nop 0
	v_mov_b32_dpp v71, v69 row_shr:4 row_mask:0xf bank_mask:0xf
	v_cndmask_b32_e32 v71, 0, v71, vcc
	v_add_u32_e32 v69, v69, v71
	v_cmp_lt_u32_e32 vcc, 7, v70
	s_nop 0
	v_mov_b32_dpp v71, v69 row_shr:8 row_mask:0xf bank_mask:0xf
	v_cndmask_b32_e32 v70, 0, v71, vcc
	v_add_u32_e32 v69, v69, v70
	v_bfe_i32 v71, v3, 4, 1
	v_cmp_lt_u32_e32 vcc, 31, v3
	v_mov_b32_dpp v70, v69 row_bcast:15 row_mask:0xf bank_mask:0xf
	v_and_b32_e32 v70, v71, v70
	v_add_u32_e32 v69, v69, v70
	s_nop 1
	v_mov_b32_dpp v70, v69 row_bcast:31 row_mask:0xf bank_mask:0xf
	v_cndmask_b32_e32 v70, 0, v70, vcc
	v_add_u32_e32 v69, v69, v70
	v_lshrrev_b32_e32 v70, 6, v2
	v_cmp_eq_u32_e32 vcc, v32, v2
	s_and_saveexec_b64 s[0:1], vcc
	s_cbranch_execz .LBB24_156
; %bb.155:
	v_lshlrev_b32_e32 v32, 2, v70
	ds_write_b32 v32, v69
.LBB24_156:
	s_or_b64 exec, exec, s[0:1]
	v_cmp_gt_u32_e32 vcc, 4, v2
	s_waitcnt lgkmcnt(0)
	s_barrier
	s_and_saveexec_b64 s[0:1], vcc
	s_cbranch_execz .LBB24_158
; %bb.157:
	v_lshlrev_b32_e32 v32, 2, v2
	ds_read_b32 v71, v32
	v_and_b32_e32 v72, 3, v3
	v_cmp_ne_u32_e32 vcc, 0, v72
	s_waitcnt lgkmcnt(0)
	v_mov_b32_dpp v73, v71 row_shr:1 row_mask:0xf bank_mask:0xf
	v_cndmask_b32_e32 v73, 0, v73, vcc
	v_add_u32_e32 v71, v73, v71
	v_cmp_lt_u32_e32 vcc, 1, v72
	s_nop 0
	v_mov_b32_dpp v73, v71 row_shr:2 row_mask:0xf bank_mask:0xf
	v_cndmask_b32_e32 v72, 0, v73, vcc
	v_add_u32_e32 v71, v71, v72
	ds_write_b32 v32, v71
.LBB24_158:
	s_or_b64 exec, exec, s[0:1]
	v_cmp_lt_u32_e32 vcc, 63, v2
	v_mov_b32_e32 v32, 0
	s_waitcnt lgkmcnt(0)
	s_barrier
	s_and_saveexec_b64 s[0:1], vcc
	s_cbranch_execz .LBB24_160
; %bb.159:
	v_lshl_add_u32 v32, v70, 2, -4
	ds_read_b32 v32, v32
.LBB24_160:
	s_or_b64 exec, exec, s[0:1]
	v_add_u32_e32 v70, -1, v3
	v_and_b32_e32 v71, 64, v3
	v_cmp_lt_i32_e32 vcc, v70, v71
	v_cndmask_b32_e32 v70, v70, v3, vcc
	s_waitcnt lgkmcnt(0)
	v_add_u32_e32 v69, v32, v69
	v_lshlrev_b32_e32 v70, 2, v70
	ds_bpermute_b32 v69, v70, v69
	v_cmp_eq_u32_e32 vcc, 0, v3
	s_movk_i32 s0, 0x100
	s_waitcnt lgkmcnt(0)
	v_cndmask_b32_e32 v32, v69, v32, vcc
	v_cmp_ne_u32_e32 vcc, 0, v2
	v_cndmask_b32_e32 v32, 0, v32, vcc
	v_add_u32_e32 v28, v32, v28
	v_add_u32_e32 v29, v28, v29
	;; [unrolled: 1-line block ×4, first 2 shown]
	ds_write2_b32 v31, v32, v28 offset0:4 offset1:5
	ds_write2_b32 v67, v29, v4 offset0:2 offset1:3
	ds_write_b32 v67, v5 offset:16
	s_waitcnt lgkmcnt(0)
	s_barrier
	ds_read_b32 v29, v36 offset:16
	ds_read_b32 v32, v40 offset:16
	;; [unrolled: 1-line block ×13, first 2 shown]
	v_add_u32_e32 v31, 1, v2
	v_cmp_ne_u32_e32 vcc, s0, v31
	v_mov_b32_e32 v5, 0xc00
	s_and_saveexec_b64 s[0:1], vcc
	s_cbranch_execz .LBB24_162
; %bb.161:
	v_mul_u32_u24_e32 v5, 5, v31
	v_lshlrev_b32_e32 v5, 2, v5
	ds_read_b32 v5, v5 offset:16
.LBB24_162:
	s_or_b64 exec, exec, s[0:1]
	s_waitcnt lgkmcnt(1)
	v_add_u32_e32 v28, v28, v34
	v_add3_u32 v29, v37, v35, v29
	v_add3_u32 v31, v41, v38, v32
	v_lshlrev_b32_e32 v41, 3, v28
	s_waitcnt lgkmcnt(0)
	s_barrier
	ds_write_b64 v41, v[6:7] offset:2048
	v_lshlrev_b32_e32 v6, 3, v29
	v_add3_u32 v32, v44, v42, v36
	ds_write_b64 v6, v[26:27] offset:2048
	v_lshlrev_b32_e32 v6, 3, v31
	v_add3_u32 v33, v47, v45, v40
	;; [unrolled: 3-line block ×9, first 2 shown]
	ds_write_b64 v6, v[10:11] offset:2048
	v_lshlrev_b32_e32 v6, 3, v39
	ds_write_b64 v6, v[8:9] offset:2048
	v_lshlrev_b32_e32 v6, 3, v40
	ds_write_b64 v6, v[0:1] offset:2048
	v_lshl_add_u32 v0, s6, 8, v2
	v_mov_b32_e32 v1, 0
	v_lshlrev_b64 v[6:7], 2, v[0:1]
	v_sub_u32_e32 v12, v5, v4
	v_mov_b32_e32 v10, s73
	v_add_co_u32_e32 v6, vcc, s72, v6
	v_addc_co_u32_e32 v7, vcc, v10, v7, vcc
	v_or_b32_e32 v0, 2.0, v12
	s_mov_b64 s[0:1], 0
	s_brev_b32 s10, 1
	v_mov_b32_e32 v5, 0
	s_waitcnt lgkmcnt(0)
	s_barrier
	global_store_dword v[6:7], v0, off
                                        ; implicit-def: $sgpr2_sgpr3
	s_branch .LBB24_165
.LBB24_163:                             ;   in Loop: Header=BB24_165 Depth=1
	s_or_b64 exec, exec, s[4:5]
.LBB24_164:                             ;   in Loop: Header=BB24_165 Depth=1
	s_or_b64 exec, exec, s[2:3]
	v_and_b32_e32 v8, 0x3fffffff, v11
	v_add_u32_e32 v5, v8, v5
	v_cmp_eq_u32_e64 s[2:3], s10, v0
	s_and_b64 s[4:5], exec, s[2:3]
	s_or_b64 s[0:1], s[4:5], s[0:1]
	s_andn2_b64 exec, exec, s[0:1]
	s_cbranch_execz .LBB24_170
.LBB24_165:                             ; =>This Loop Header: Depth=1
                                        ;     Child Loop BB24_168 Depth 2
	s_or_b64 s[2:3], s[2:3], exec
	s_cmp_eq_u32 s7, 0
	s_cbranch_scc1 .LBB24_169
; %bb.166:                              ;   in Loop: Header=BB24_165 Depth=1
	s_add_i32 s7, s7, -1
	v_lshl_add_u32 v0, s7, 8, v2
	v_lshlrev_b64 v[8:9], 2, v[0:1]
	v_add_co_u32_e32 v8, vcc, s72, v8
	v_addc_co_u32_e32 v9, vcc, v10, v9, vcc
	global_load_dword v11, v[8:9], off glc
	s_waitcnt vmcnt(0)
	v_and_b32_e32 v0, -2.0, v11
	v_cmp_eq_u32_e32 vcc, 0, v0
	s_and_saveexec_b64 s[2:3], vcc
	s_cbranch_execz .LBB24_164
; %bb.167:                              ;   in Loop: Header=BB24_165 Depth=1
	s_mov_b64 s[4:5], 0
.LBB24_168:                             ;   Parent Loop BB24_165 Depth=1
                                        ; =>  This Inner Loop Header: Depth=2
	global_load_dword v11, v[8:9], off glc
	s_waitcnt vmcnt(0)
	v_and_b32_e32 v0, -2.0, v11
	v_cmp_ne_u32_e32 vcc, 0, v0
	s_or_b64 s[4:5], vcc, s[4:5]
	s_andn2_b64 exec, exec, s[4:5]
	s_cbranch_execnz .LBB24_168
	s_branch .LBB24_163
.LBB24_169:                             ;   in Loop: Header=BB24_165 Depth=1
                                        ; implicit-def: $sgpr7
	s_and_b64 s[4:5], exec, s[2:3]
	s_or_b64 s[0:1], s[4:5], s[0:1]
	s_andn2_b64 exec, exec, s[0:1]
	s_cbranch_execnz .LBB24_165
.LBB24_170:
	s_or_b64 exec, exec, s[0:1]
	v_add_u32_e32 v0, v5, v12
	v_or_b32_e32 v0, 0x80000000, v0
	global_store_dword v[6:7], v0, off
	v_lshlrev_b32_e32 v8, 3, v2
	global_load_dwordx2 v[0:1], v8, s[64:65]
	v_sub_co_u32_e32 v5, vcc, v5, v4
	v_subb_co_u32_e64 v6, s[0:1], 0, 0, vcc
	v_mov_b32_e32 v9, s59
	v_mov_b32_e32 v13, s59
	v_mov_b32_e32 v41, s59
	v_mov_b32_e32 v54, s59
	v_add_u32_e32 v55, 0x1000, v8
	s_add_u32 s0, s60, s54
	s_addc_u32 s1, s61, 0
	s_add_i32 s8, s8, -1
	s_cmp_eq_u32 s6, s8
	s_waitcnt vmcnt(0)
	v_add_co_u32_e32 v0, vcc, v5, v0
	v_addc_co_u32_e32 v1, vcc, v6, v1, vcc
	ds_write_b64 v8, v[0:1]
	s_waitcnt lgkmcnt(0)
	s_barrier
	ds_read2st64_b64 v[14:17], v8 offset0:4 offset1:8
	ds_read2st64_b64 v[18:21], v8 offset0:12 offset1:16
	;; [unrolled: 1-line block ×4, first 2 shown]
	v_add_u32_e32 v5, 0x1800, v8
	s_waitcnt lgkmcnt(2)
	v_lshrrev_b64 v[10:11], s68, v[18:19]
	v_lshrrev_b64 v[0:1], s68, v[14:15]
	;; [unrolled: 1-line block ×4, first 2 shown]
	s_waitcnt lgkmcnt(1)
	v_lshrrev_b64 v[46:47], s68, v[22:23]
	v_lshrrev_b64 v[48:49], s68, v[24:25]
	s_waitcnt lgkmcnt(0)
	v_lshrrev_b64 v[50:51], s68, v[42:43]
	v_and_b32_e32 v0, s9, v0
	v_lshrrev_b64 v[52:53], s68, v[44:45]
	v_and_b32_e32 v1, s9, v6
	v_and_b32_e32 v6, s9, v10
	;; [unrolled: 1-line block ×6, first 2 shown]
	v_lshlrev_b32_e32 v47, 3, v0
	v_and_b32_e32 v46, s9, v52
	v_lshlrev_b32_e32 v48, 3, v1
	v_lshlrev_b32_e32 v49, 3, v6
	;; [unrolled: 1-line block ×6, first 2 shown]
	ds_read_b64 v[0:1], v47
	ds_read_b64 v[6:7], v48
	;; [unrolled: 1-line block ×4, first 2 shown]
	v_xor_b32_e32 v15, 0x80000000, v15
	s_waitcnt lgkmcnt(3)
	v_lshlrev_b64 v[0:1], 3, v[0:1]
	v_add_co_u32_e32 v0, vcc, s58, v0
	s_waitcnt lgkmcnt(2)
	v_lshlrev_b64 v[6:7], 3, v[6:7]
	v_addc_co_u32_e32 v1, vcc, v9, v1, vcc
	v_add_co_u32_e32 v6, vcc, s58, v6
	s_waitcnt lgkmcnt(1)
	v_lshlrev_b64 v[10:11], 3, v[10:11]
	v_addc_co_u32_e32 v7, vcc, v13, v7, vcc
	;; [unrolled: 4-line block ×3, first 2 shown]
	v_add_co_u32_e32 v13, vcc, s58, v26
	v_addc_co_u32_e32 v27, vcc, v54, v27, vcc
	v_add_co_u32_e32 v0, vcc, v0, v8
	v_addc_co_u32_e32 v1, vcc, 0, v1, vcc
	;; [unrolled: 2-line block ×3, first 2 shown]
	v_add_co_u32_e32 v10, vcc, v9, v55
	v_xor_b32_e32 v17, 0x80000000, v17
	v_xor_b32_e32 v19, 0x80000000, v19
	v_addc_co_u32_e32 v11, vcc, 0, v11, vcc
	global_store_dwordx2 v[0:1], v[14:15], off
	global_store_dwordx2 v[6:7], v[16:17], off offset:2048
	global_store_dwordx2 v[10:11], v[18:19], off
	ds_read_b64 v[0:1], v51
	v_add_co_u32_e32 v26, vcc, v13, v5
	v_xor_b32_e32 v21, 0x80000000, v21
	v_addc_co_u32_e32 v27, vcc, 0, v27, vcc
	s_waitcnt lgkmcnt(0)
	v_lshlrev_b64 v[0:1], 3, v[0:1]
	global_store_dwordx2 v[26:27], v[20:21], off
	v_mov_b32_e32 v5, s59
	v_add_co_u32_e32 v0, vcc, s58, v0
	v_lshlrev_b32_e32 v46, 3, v46
	ds_read_b64 v[6:7], v52
	ds_read_b64 v[10:11], v53
	;; [unrolled: 1-line block ×3, first 2 shown]
	v_addc_co_u32_e32 v1, vcc, v5, v1, vcc
	v_or_b32_e32 v5, 0x2000, v8
	v_add_co_u32_e32 v0, vcc, v0, v5
	v_xor_b32_e32 v23, 0x80000000, v23
	v_addc_co_u32_e32 v1, vcc, 0, v1, vcc
	global_store_dwordx2 v[0:1], v[22:23], off
	s_waitcnt lgkmcnt(2)
	v_lshlrev_b64 v[0:1], 3, v[6:7]
	v_mov_b32_e32 v5, s59
	v_add_co_u32_e32 v0, vcc, s58, v0
	v_addc_co_u32_e32 v1, vcc, v5, v1, vcc
	v_add_u32_e32 v5, 0x2800, v8
	v_add_co_u32_e32 v0, vcc, v0, v5
	v_xor_b32_e32 v25, 0x80000000, v25
	v_addc_co_u32_e32 v1, vcc, 0, v1, vcc
	global_store_dwordx2 v[0:1], v[24:25], off
	s_waitcnt lgkmcnt(1)
	v_lshlrev_b64 v[0:1], 3, v[10:11]
	v_mov_b32_e32 v5, s59
	v_add_co_u32_e32 v0, vcc, s58, v0
	v_addc_co_u32_e32 v1, vcc, v5, v1, vcc
	v_add_u32_e32 v5, 0x3000, v8
	v_add_co_u32_e32 v0, vcc, v0, v5
	v_xor_b32_e32 v43, 0x80000000, v43
	v_addc_co_u32_e32 v1, vcc, 0, v1, vcc
	global_store_dwordx2 v[0:1], v[42:43], off
	s_waitcnt lgkmcnt(0)
	v_lshlrev_b64 v[0:1], 3, v[14:15]
	ds_read2st64_b64 v[14:17], v8 offset0:36 offset1:40
	v_mov_b32_e32 v5, s59
	v_add_co_u32_e32 v0, vcc, s58, v0
	v_addc_co_u32_e32 v1, vcc, v5, v1, vcc
	v_add_u32_e32 v5, 0x3800, v8
	v_add_co_u32_e32 v0, vcc, v0, v5
	v_xor_b32_e32 v45, 0x80000000, v45
	v_addc_co_u32_e32 v1, vcc, 0, v1, vcc
	ds_read2st64_b64 v[18:21], v8 offset0:44 offset1:48
	global_store_dwordx2 v[0:1], v[44:45], off
	s_waitcnt lgkmcnt(1)
	v_lshrrev_b64 v[0:1], s68, v[14:15]
	v_and_b32_e32 v0, s9, v0
	v_lshlrev_b32_e32 v9, 3, v0
	v_lshrrev_b64 v[0:1], s68, v[16:17]
	v_and_b32_e32 v0, s9, v0
	v_lshlrev_b32_e32 v13, 3, v0
	s_waitcnt lgkmcnt(0)
	v_lshrrev_b64 v[0:1], s68, v[18:19]
	v_and_b32_e32 v0, s9, v0
	v_lshlrev_b32_e32 v24, 3, v0
	v_lshrrev_b64 v[0:1], s68, v[20:21]
	v_and_b32_e32 v5, s9, v0
	ds_read_b64 v[0:1], v9
	v_lshlrev_b32_e32 v25, 3, v5
	v_mov_b32_e32 v5, s59
	ds_read_b64 v[6:7], v13
	ds_read_b64 v[10:11], v24
	;; [unrolled: 1-line block ×3, first 2 shown]
	v_xor_b32_e32 v15, 0x80000000, v15
	s_waitcnt lgkmcnt(3)
	v_lshlrev_b64 v[0:1], 3, v[0:1]
	v_add_co_u32_e32 v0, vcc, s58, v0
	v_addc_co_u32_e32 v1, vcc, v5, v1, vcc
	v_or_b32_e32 v5, 0x4000, v8
	v_add_co_u32_e32 v0, vcc, v0, v5
	v_addc_co_u32_e32 v1, vcc, 0, v1, vcc
	global_store_dwordx2 v[0:1], v[14:15], off
	s_waitcnt lgkmcnt(2)
	v_lshlrev_b64 v[0:1], 3, v[6:7]
	v_mov_b32_e32 v5, s59
	v_add_co_u32_e32 v0, vcc, s58, v0
	v_addc_co_u32_e32 v1, vcc, v5, v1, vcc
	v_add_u32_e32 v5, 0x4800, v8
	v_add_co_u32_e32 v0, vcc, v0, v5
	v_xor_b32_e32 v17, 0x80000000, v17
	v_addc_co_u32_e32 v1, vcc, 0, v1, vcc
	global_store_dwordx2 v[0:1], v[16:17], off
	s_waitcnt lgkmcnt(1)
	v_lshlrev_b64 v[0:1], 3, v[10:11]
	v_mov_b32_e32 v5, s59
	v_add_co_u32_e32 v0, vcc, s58, v0
	v_addc_co_u32_e32 v1, vcc, v5, v1, vcc
	v_add_u32_e32 v5, 0x5000, v8
	v_add_co_u32_e32 v0, vcc, v0, v5
	v_xor_b32_e32 v19, 0x80000000, v19
	;; [unrolled: 10-line block ×3, first 2 shown]
	v_addc_co_u32_e32 v1, vcc, 0, v1, vcc
	global_store_dwordx2 v[0:1], v[20:21], off
	v_mov_b32_e32 v0, s1
	v_add_co_u32_e32 v1, vcc, s0, v3
	v_addc_co_u32_e32 v3, vcc, 0, v0, vcc
	v_add_co_u32_e32 v0, vcc, v1, v30
	v_addc_co_u32_e32 v1, vcc, 0, v3, vcc
	global_load_ubyte v6, v[0:1], off
	global_load_ubyte v7, v[0:1], off offset:64
	global_load_ubyte v10, v[0:1], off offset:128
	;; [unrolled: 1-line block ×11, first 2 shown]
	s_barrier
	s_waitcnt vmcnt(11)
	ds_write_b8 v28, v6 offset:2048
	s_waitcnt vmcnt(10)
	ds_write_b8 v29, v7 offset:2048
	;; [unrolled: 2-line block ×12, first 2 shown]
	s_waitcnt lgkmcnt(0)
	s_barrier
	ds_read_b64 v[0:1], v47
	ds_read_b64 v[6:7], v48
	;; [unrolled: 1-line block ×4, first 2 shown]
	v_mov_b32_e32 v16, s63
	s_waitcnt lgkmcnt(3)
	v_add_co_u32_e32 v0, vcc, s62, v0
	v_addc_co_u32_e32 v1, vcc, v16, v1, vcc
	v_add_co_u32_e32 v0, vcc, v0, v2
	v_addc_co_u32_e32 v1, vcc, 0, v1, vcc
	ds_read_u8 v16, v2 offset:2048
	ds_read_u8 v17, v2 offset:2304
	;; [unrolled: 1-line block ×8, first 2 shown]
	s_waitcnt lgkmcnt(7)
	global_store_byte v[0:1], v16, off
	v_mov_b32_e32 v0, s63
	v_add_co_u32_e32 v1, vcc, s62, v6
	v_addc_co_u32_e32 v6, vcc, v0, v7, vcc
	v_add_co_u32_e32 v0, vcc, v1, v2
	v_addc_co_u32_e32 v1, vcc, 0, v6, vcc
	s_waitcnt lgkmcnt(6)
	global_store_byte v[0:1], v17, off offset:256
	v_mov_b32_e32 v0, s63
	v_add_co_u32_e32 v1, vcc, s62, v10
	v_addc_co_u32_e32 v6, vcc, v0, v11, vcc
	v_add_co_u32_e32 v0, vcc, v1, v2
	v_addc_co_u32_e32 v1, vcc, 0, v6, vcc
	s_waitcnt lgkmcnt(5)
	global_store_byte v[0:1], v18, off offset:512
	;; [unrolled: 7-line block ×3, first 2 shown]
	ds_read_b64 v[0:1], v51
	ds_read_b64 v[6:7], v52
	;; [unrolled: 1-line block ×4, first 2 shown]
	v_mov_b32_e32 v16, s63
	s_waitcnt lgkmcnt(3)
	v_add_co_u32_e32 v0, vcc, s62, v0
	v_addc_co_u32_e32 v1, vcc, v16, v1, vcc
	v_add_co_u32_e32 v0, vcc, v0, v2
	v_addc_co_u32_e32 v1, vcc, 0, v1, vcc
	global_store_byte v[0:1], v20, off offset:1024
	v_mov_b32_e32 v0, s63
	s_waitcnt lgkmcnt(2)
	v_add_co_u32_e32 v1, vcc, s62, v6
	v_addc_co_u32_e32 v6, vcc, v0, v7, vcc
	v_add_co_u32_e32 v0, vcc, v1, v2
	v_addc_co_u32_e32 v1, vcc, 0, v6, vcc
	global_store_byte v[0:1], v21, off offset:1280
	;; [unrolled: 7-line block ×4, first 2 shown]
	ds_read_u8 v16, v2 offset:4096
	ds_read_b64 v[0:1], v9
	ds_read_b64 v[6:7], v13
	;; [unrolled: 1-line block ×4, first 2 shown]
	v_mov_b32_e32 v17, s63
	s_waitcnt lgkmcnt(3)
	v_add_co_u32_e32 v0, vcc, s62, v0
	v_addc_co_u32_e32 v1, vcc, v17, v1, vcc
	v_add_co_u32_e32 v0, vcc, v0, v2
	v_addc_co_u32_e32 v1, vcc, 0, v1, vcc
	ds_read_u8 v9, v2 offset:4352
	ds_read_u8 v13, v2 offset:4608
	;; [unrolled: 1-line block ×3, first 2 shown]
	global_store_byte v[0:1], v16, off offset:2048
	v_mov_b32_e32 v0, s63
	s_waitcnt lgkmcnt(5)
	v_add_co_u32_e32 v1, vcc, s62, v6
	v_addc_co_u32_e32 v6, vcc, v0, v7, vcc
	v_add_co_u32_e32 v0, vcc, v1, v2
	v_addc_co_u32_e32 v1, vcc, 0, v6, vcc
	s_waitcnt lgkmcnt(2)
	global_store_byte v[0:1], v9, off offset:2304
	v_mov_b32_e32 v0, s63
	v_add_co_u32_e32 v1, vcc, s62, v10
	v_addc_co_u32_e32 v6, vcc, v0, v11, vcc
	v_add_co_u32_e32 v0, vcc, v1, v2
	v_addc_co_u32_e32 v1, vcc, 0, v6, vcc
	s_waitcnt lgkmcnt(1)
	global_store_byte v[0:1], v13, off offset:2560
	v_mov_b32_e32 v0, s63
	v_add_co_u32_e32 v1, vcc, s62, v14
	v_addc_co_u32_e32 v6, vcc, v0, v15, vcc
	v_mov_b32_e32 v3, 0
	v_add_co_u32_e32 v0, vcc, v1, v2
	v_mov_b32_e32 v5, v3
	v_addc_co_u32_e32 v1, vcc, 0, v6, vcc
	s_cselect_b64 s[0:1], -1, 0
	s_waitcnt lgkmcnt(0)
	global_store_byte v[0:1], v17, off offset:2816
.LBB24_171:
	s_and_b64 vcc, exec, s[0:1]
	s_cbranch_vccnz .LBB24_173
; %bb.172:
	s_endpgm
.LBB24_173:
	v_lshlrev_b64 v[0:1], 3, v[2:3]
	ds_read_b64 v[2:3], v8
	v_add_co_u32_e32 v4, vcc, v4, v12
	v_addc_co_u32_e32 v5, vcc, 0, v5, vcc
	v_mov_b32_e32 v6, s67
	v_add_co_u32_e32 v0, vcc, s66, v0
	v_addc_co_u32_e32 v1, vcc, v6, v1, vcc
	s_waitcnt lgkmcnt(0)
	v_add_co_u32_e32 v2, vcc, v4, v2
	v_addc_co_u32_e32 v3, vcc, v5, v3, vcc
	global_store_dwordx2 v[0:1], v[2:3], off
	s_endpgm
.LBB24_174:
	global_load_ubyte v9, v[6:7], off
	s_or_b64 exec, exec, s[0:1]
                                        ; implicit-def: $vgpr10
	s_and_saveexec_b64 s[0:1], s[2:3]
	s_cbranch_execz .LBB24_91
.LBB24_175:
	global_load_ubyte v10, v[6:7], off offset:64
	s_or_b64 exec, exec, s[0:1]
                                        ; implicit-def: $vgpr11
	s_and_saveexec_b64 s[0:1], s[50:51]
	s_cbranch_execz .LBB24_92
.LBB24_176:
	global_load_ubyte v11, v[6:7], off offset:128
	s_or_b64 exec, exec, s[0:1]
                                        ; implicit-def: $vgpr13
	s_and_saveexec_b64 s[0:1], s[8:9]
	s_cbranch_execz .LBB24_93
.LBB24_177:
	global_load_ubyte v13, v[6:7], off offset:192
	s_or_b64 exec, exec, s[0:1]
                                        ; implicit-def: $vgpr14
	s_and_saveexec_b64 s[0:1], s[10:11]
	s_cbranch_execz .LBB24_94
.LBB24_178:
	global_load_ubyte v14, v[6:7], off offset:256
	s_or_b64 exec, exec, s[0:1]
                                        ; implicit-def: $vgpr15
	s_and_saveexec_b64 s[0:1], s[12:13]
	s_cbranch_execz .LBB24_95
.LBB24_179:
	global_load_ubyte v15, v[6:7], off offset:320
	s_or_b64 exec, exec, s[0:1]
                                        ; implicit-def: $vgpr16
	s_and_saveexec_b64 s[0:1], s[14:15]
	s_cbranch_execz .LBB24_96
.LBB24_180:
	global_load_ubyte v16, v[6:7], off offset:384
	s_or_b64 exec, exec, s[0:1]
                                        ; implicit-def: $vgpr19
	s_and_saveexec_b64 s[0:1], s[16:17]
	s_cbranch_execz .LBB24_97
.LBB24_181:
	global_load_ubyte v19, v[6:7], off offset:448
	s_or_b64 exec, exec, s[0:1]
                                        ; implicit-def: $vgpr21
	s_and_saveexec_b64 s[0:1], s[18:19]
	s_cbranch_execz .LBB24_98
.LBB24_182:
	global_load_ubyte v21, v[6:7], off offset:512
	s_or_b64 exec, exec, s[0:1]
                                        ; implicit-def: $vgpr24
	s_and_saveexec_b64 s[0:1], s[20:21]
	s_cbranch_execz .LBB24_99
.LBB24_183:
	global_load_ubyte v24, v[6:7], off offset:576
	s_or_b64 exec, exec, s[0:1]
                                        ; implicit-def: $vgpr27
	s_and_saveexec_b64 s[0:1], s[22:23]
	s_cbranch_execz .LBB24_100
.LBB24_184:
	global_load_ubyte v27, v[6:7], off offset:640
	s_or_b64 exec, exec, s[0:1]
                                        ; implicit-def: $vgpr32
	s_and_saveexec_b64 s[0:1], s[24:25]
	s_cbranch_execz .LBB24_101
.LBB24_185:
	global_load_ubyte v32, v[6:7], off offset:704
	s_or_b64 exec, exec, s[0:1]
                                        ; implicit-def: $vgpr33
	s_and_saveexec_b64 s[0:1], vcc
	s_cbranch_execz .LBB24_102
.LBB24_186:
	ds_read_b64 v[6:7], v8 offset:2048
	s_waitcnt lgkmcnt(0)
	v_lshrrev_b64 v[6:7], s68, v[6:7]
	v_and_b32_e32 v33, s55, v6
	s_or_b64 exec, exec, s[0:1]
                                        ; implicit-def: $vgpr29
	s_and_saveexec_b64 s[0:1], s[26:27]
	s_cbranch_execz .LBB24_103
.LBB24_187:
	v_lshlrev_b32_e32 v6, 3, v2
	ds_read_b64 v[6:7], v6 offset:4096
	s_waitcnt lgkmcnt(0)
	v_lshrrev_b64 v[6:7], s68, v[6:7]
	v_and_b32_e32 v29, s55, v6
	s_or_b64 exec, exec, s[0:1]
                                        ; implicit-def: $vgpr28
	s_and_saveexec_b64 s[0:1], s[28:29]
	s_cbranch_execz .LBB24_104
.LBB24_188:
	v_lshlrev_b32_e32 v6, 3, v2
	ds_read_b64 v[6:7], v6 offset:6144
	s_waitcnt lgkmcnt(0)
	v_lshrrev_b64 v[6:7], s68, v[6:7]
	v_and_b32_e32 v28, s55, v6
	s_or_b64 exec, exec, s[0:1]
                                        ; implicit-def: $vgpr26
	s_and_saveexec_b64 s[0:1], s[30:31]
	s_cbranch_execz .LBB24_105
.LBB24_189:
	v_lshlrev_b32_e32 v6, 3, v2
	ds_read_b64 v[6:7], v6 offset:8192
	s_waitcnt lgkmcnt(0)
	v_lshrrev_b64 v[6:7], s68, v[6:7]
	v_and_b32_e32 v26, s55, v6
	s_or_b64 exec, exec, s[0:1]
                                        ; implicit-def: $vgpr25
	s_and_saveexec_b64 s[0:1], s[34:35]
	s_cbranch_execz .LBB24_106
.LBB24_190:
	v_lshlrev_b32_e32 v6, 3, v2
	ds_read_b64 v[6:7], v6 offset:10240
	s_waitcnt lgkmcnt(0)
	v_lshrrev_b64 v[6:7], s68, v[6:7]
	v_and_b32_e32 v25, s55, v6
	s_or_b64 exec, exec, s[0:1]
                                        ; implicit-def: $vgpr23
	s_and_saveexec_b64 s[0:1], s[36:37]
	s_cbranch_execz .LBB24_107
.LBB24_191:
	v_lshlrev_b32_e32 v6, 3, v2
	ds_read_b64 v[6:7], v6 offset:12288
	s_waitcnt lgkmcnt(0)
	v_lshrrev_b64 v[6:7], s68, v[6:7]
	v_and_b32_e32 v23, s55, v6
	s_or_b64 exec, exec, s[0:1]
                                        ; implicit-def: $vgpr22
	s_and_saveexec_b64 s[0:1], s[38:39]
	s_cbranch_execz .LBB24_108
.LBB24_192:
	v_lshlrev_b32_e32 v6, 3, v2
	ds_read_b64 v[6:7], v6 offset:14336
	s_waitcnt lgkmcnt(0)
	v_lshrrev_b64 v[6:7], s68, v[6:7]
	v_and_b32_e32 v22, s55, v6
	s_or_b64 exec, exec, s[0:1]
                                        ; implicit-def: $vgpr20
	s_and_saveexec_b64 s[0:1], s[40:41]
	s_cbranch_execz .LBB24_109
.LBB24_193:
	v_lshlrev_b32_e32 v6, 3, v2
	ds_read_b64 v[6:7], v6 offset:16384
	s_waitcnt lgkmcnt(0)
	v_lshrrev_b64 v[6:7], s68, v[6:7]
	v_and_b32_e32 v20, s55, v6
	s_or_b64 exec, exec, s[0:1]
                                        ; implicit-def: $vgpr18
	s_and_saveexec_b64 s[0:1], s[42:43]
	s_cbranch_execnz .LBB24_110
	s_branch .LBB24_111
.LBB24_194:
	v_lshlrev_b32_e32 v7, 3, v2
	ds_read_b64 v[44:45], v7 offset:20480
	s_waitcnt lgkmcnt(0)
	v_lshrrev_b64 v[44:45], s68, v[44:45]
	v_and_b32_e32 v17, s55, v44
	s_or_b64 exec, exec, s[0:1]
	s_and_saveexec_b64 s[0:1], s[46:47]
	s_cbranch_execz .LBB24_113
.LBB24_195:
	v_lshlrev_b32_e32 v6, 3, v2
	ds_read_b64 v[6:7], v6 offset:22528
	s_waitcnt lgkmcnt(0)
	v_lshrrev_b64 v[6:7], s68, v[6:7]
	v_and_b32_e32 v6, s55, v6
	s_or_b64 exec, exec, s[0:1]
	v_mov_b32_e32 v7, 0
	s_and_saveexec_b64 s[0:1], s[48:49]
	s_cbranch_execnz .LBB24_114
	s_branch .LBB24_115
.LBB24_196:
	v_lshlrev_b32_e32 v9, 3, v33
	ds_read_b64 v[10:11], v9
	ds_read_u8 v9, v2 offset:2048
	v_mov_b32_e32 v13, s63
	s_waitcnt lgkmcnt(1)
	v_add_co_u32_e32 v10, vcc, s62, v10
	v_addc_co_u32_e32 v11, vcc, v13, v11, vcc
	v_add_co_u32_e32 v10, vcc, v10, v2
	v_addc_co_u32_e32 v11, vcc, 0, v11, vcc
	s_waitcnt lgkmcnt(0)
	global_store_byte v[10:11], v9, off
	s_or_b64 exec, exec, s[0:1]
	s_and_saveexec_b64 s[0:1], s[26:27]
	s_cbranch_execz .LBB24_117
.LBB24_197:
	v_lshlrev_b32_e32 v9, 3, v29
	ds_read_b64 v[10:11], v9
	ds_read_u8 v9, v2 offset:2304
	v_mov_b32_e32 v13, s63
	s_waitcnt lgkmcnt(1)
	v_add_co_u32_e32 v10, vcc, s62, v10
	v_addc_co_u32_e32 v11, vcc, v13, v11, vcc
	v_add_co_u32_e32 v10, vcc, v10, v2
	v_addc_co_u32_e32 v11, vcc, 0, v11, vcc
	s_waitcnt lgkmcnt(0)
	global_store_byte v[10:11], v9, off offset:256
	s_or_b64 exec, exec, s[0:1]
	s_and_saveexec_b64 s[0:1], s[28:29]
	s_cbranch_execz .LBB24_118
.LBB24_198:
	v_lshlrev_b32_e32 v9, 3, v28
	ds_read_b64 v[10:11], v9
	ds_read_u8 v9, v2 offset:2560
	v_mov_b32_e32 v13, s63
	s_waitcnt lgkmcnt(1)
	v_add_co_u32_e32 v10, vcc, s62, v10
	v_addc_co_u32_e32 v11, vcc, v13, v11, vcc
	v_add_co_u32_e32 v10, vcc, v10, v2
	v_addc_co_u32_e32 v11, vcc, 0, v11, vcc
	s_waitcnt lgkmcnt(0)
	global_store_byte v[10:11], v9, off offset:512
	s_or_b64 exec, exec, s[0:1]
	s_and_saveexec_b64 s[0:1], s[30:31]
	s_cbranch_execz .LBB24_119
.LBB24_199:
	v_lshlrev_b32_e32 v9, 3, v26
	ds_read_b64 v[10:11], v9
	ds_read_u8 v9, v2 offset:2816
	v_mov_b32_e32 v13, s63
	s_waitcnt lgkmcnt(1)
	v_add_co_u32_e32 v10, vcc, s62, v10
	v_addc_co_u32_e32 v11, vcc, v13, v11, vcc
	v_add_co_u32_e32 v10, vcc, v10, v2
	v_addc_co_u32_e32 v11, vcc, 0, v11, vcc
	s_waitcnt lgkmcnt(0)
	global_store_byte v[10:11], v9, off offset:768
	s_or_b64 exec, exec, s[0:1]
	s_and_saveexec_b64 s[0:1], s[34:35]
	s_cbranch_execz .LBB24_120
.LBB24_200:
	v_lshlrev_b32_e32 v9, 3, v25
	ds_read_b64 v[10:11], v9
	ds_read_u8 v9, v2 offset:3072
	v_mov_b32_e32 v13, s63
	s_waitcnt lgkmcnt(1)
	v_add_co_u32_e32 v10, vcc, s62, v10
	v_addc_co_u32_e32 v11, vcc, v13, v11, vcc
	v_add_co_u32_e32 v10, vcc, v10, v2
	v_addc_co_u32_e32 v11, vcc, 0, v11, vcc
	s_waitcnt lgkmcnt(0)
	global_store_byte v[10:11], v9, off offset:1024
	s_or_b64 exec, exec, s[0:1]
	s_and_saveexec_b64 s[0:1], s[36:37]
	s_cbranch_execz .LBB24_121
.LBB24_201:
	v_lshlrev_b32_e32 v9, 3, v23
	ds_read_b64 v[10:11], v9
	ds_read_u8 v9, v2 offset:3328
	v_mov_b32_e32 v13, s63
	s_waitcnt lgkmcnt(1)
	v_add_co_u32_e32 v10, vcc, s62, v10
	v_addc_co_u32_e32 v11, vcc, v13, v11, vcc
	v_add_co_u32_e32 v10, vcc, v10, v2
	v_addc_co_u32_e32 v11, vcc, 0, v11, vcc
	s_waitcnt lgkmcnt(0)
	global_store_byte v[10:11], v9, off offset:1280
	s_or_b64 exec, exec, s[0:1]
	s_and_saveexec_b64 s[0:1], s[38:39]
	s_cbranch_execz .LBB24_122
.LBB24_202:
	v_lshlrev_b32_e32 v9, 3, v22
	ds_read_b64 v[10:11], v9
	ds_read_u8 v9, v2 offset:3584
	v_mov_b32_e32 v13, s63
	s_waitcnt lgkmcnt(1)
	v_add_co_u32_e32 v10, vcc, s62, v10
	v_addc_co_u32_e32 v11, vcc, v13, v11, vcc
	v_add_co_u32_e32 v10, vcc, v10, v2
	v_addc_co_u32_e32 v11, vcc, 0, v11, vcc
	s_waitcnt lgkmcnt(0)
	global_store_byte v[10:11], v9, off offset:1536
	s_or_b64 exec, exec, s[0:1]
	s_and_saveexec_b64 s[0:1], s[40:41]
	s_cbranch_execz .LBB24_123
.LBB24_203:
	v_lshlrev_b32_e32 v9, 3, v20
	ds_read_b64 v[10:11], v9
	ds_read_u8 v9, v2 offset:3840
	v_mov_b32_e32 v13, s63
	s_waitcnt lgkmcnt(1)
	v_add_co_u32_e32 v10, vcc, s62, v10
	v_addc_co_u32_e32 v11, vcc, v13, v11, vcc
	v_add_co_u32_e32 v10, vcc, v10, v2
	v_addc_co_u32_e32 v11, vcc, 0, v11, vcc
	s_waitcnt lgkmcnt(0)
	global_store_byte v[10:11], v9, off offset:1792
	s_or_b64 exec, exec, s[0:1]
	s_and_saveexec_b64 s[0:1], s[42:43]
	s_cbranch_execz .LBB24_124
.LBB24_204:
	v_lshlrev_b32_e32 v9, 3, v18
	ds_read_b64 v[10:11], v9
	ds_read_u8 v9, v2 offset:4096
	v_mov_b32_e32 v13, s63
	s_waitcnt lgkmcnt(1)
	v_add_co_u32_e32 v10, vcc, s62, v10
	v_addc_co_u32_e32 v11, vcc, v13, v11, vcc
	v_add_co_u32_e32 v10, vcc, v10, v2
	v_addc_co_u32_e32 v11, vcc, 0, v11, vcc
	s_waitcnt lgkmcnt(0)
	global_store_byte v[10:11], v9, off offset:2048
	s_or_b64 exec, exec, s[0:1]
	s_and_saveexec_b64 s[0:1], s[44:45]
	s_cbranch_execz .LBB24_125
.LBB24_205:
	v_lshlrev_b32_e32 v9, 3, v17
	ds_read_b64 v[10:11], v9
	ds_read_u8 v9, v2 offset:4352
	v_mov_b32_e32 v13, s63
	s_waitcnt lgkmcnt(1)
	v_add_co_u32_e32 v10, vcc, s62, v10
	v_addc_co_u32_e32 v11, vcc, v13, v11, vcc
	v_add_co_u32_e32 v10, vcc, v10, v2
	v_addc_co_u32_e32 v11, vcc, 0, v11, vcc
	s_waitcnt lgkmcnt(0)
	global_store_byte v[10:11], v9, off offset:2304
	s_or_b64 exec, exec, s[0:1]
	s_and_saveexec_b64 s[0:1], s[46:47]
	s_cbranch_execz .LBB24_126
.LBB24_206:
	v_lshlrev_b32_e32 v6, 3, v6
	ds_read_b64 v[10:11], v6
	ds_read_u8 v6, v2 offset:4608
	v_mov_b32_e32 v9, s63
	s_waitcnt lgkmcnt(1)
	v_add_co_u32_e32 v10, vcc, s62, v10
	v_addc_co_u32_e32 v9, vcc, v9, v11, vcc
	v_add_co_u32_e32 v10, vcc, v10, v2
	v_addc_co_u32_e32 v11, vcc, 0, v9, vcc
	s_waitcnt lgkmcnt(0)
	global_store_byte v[10:11], v6, off offset:2560
	s_or_b64 exec, exec, s[0:1]
	s_and_saveexec_b64 s[0:1], s[48:49]
	s_cbranch_execnz .LBB24_127
	s_branch .LBB24_128
	.section	.rodata,"a",@progbits
	.p2align	6, 0x0
	.amdhsa_kernel _ZN7rocprim17ROCPRIM_304000_NS6detail25onesweep_iteration_kernelINS1_34wrapped_radix_sort_onesweep_configINS0_14default_configElN2at4cuda3cub6detail10OpaqueTypeILi1EEEEELb0EPKlPlPKSA_PSA_mNS0_19identity_decomposerEEEvT1_T2_T3_T4_jPT5_SO_PNS1_23onesweep_lookback_stateET6_jjj
		.amdhsa_group_segment_fixed_size 26624
		.amdhsa_private_segment_fixed_size 0
		.amdhsa_kernarg_size 336
		.amdhsa_user_sgpr_count 6
		.amdhsa_user_sgpr_private_segment_buffer 1
		.amdhsa_user_sgpr_dispatch_ptr 0
		.amdhsa_user_sgpr_queue_ptr 0
		.amdhsa_user_sgpr_kernarg_segment_ptr 1
		.amdhsa_user_sgpr_dispatch_id 0
		.amdhsa_user_sgpr_flat_scratch_init 0
		.amdhsa_user_sgpr_kernarg_preload_length 0
		.amdhsa_user_sgpr_kernarg_preload_offset 0
		.amdhsa_user_sgpr_private_segment_size 0
		.amdhsa_uses_dynamic_stack 0
		.amdhsa_system_sgpr_private_segment_wavefront_offset 0
		.amdhsa_system_sgpr_workgroup_id_x 1
		.amdhsa_system_sgpr_workgroup_id_y 0
		.amdhsa_system_sgpr_workgroup_id_z 0
		.amdhsa_system_sgpr_workgroup_info 0
		.amdhsa_system_vgpr_workitem_id 2
		.amdhsa_next_free_vgpr 76
		.amdhsa_next_free_sgpr 74
		.amdhsa_accum_offset 76
		.amdhsa_reserve_vcc 1
		.amdhsa_reserve_flat_scratch 0
		.amdhsa_float_round_mode_32 0
		.amdhsa_float_round_mode_16_64 0
		.amdhsa_float_denorm_mode_32 3
		.amdhsa_float_denorm_mode_16_64 3
		.amdhsa_dx10_clamp 1
		.amdhsa_ieee_mode 1
		.amdhsa_fp16_overflow 0
		.amdhsa_tg_split 0
		.amdhsa_exception_fp_ieee_invalid_op 0
		.amdhsa_exception_fp_denorm_src 0
		.amdhsa_exception_fp_ieee_div_zero 0
		.amdhsa_exception_fp_ieee_overflow 0
		.amdhsa_exception_fp_ieee_underflow 0
		.amdhsa_exception_fp_ieee_inexact 0
		.amdhsa_exception_int_div_zero 0
	.end_amdhsa_kernel
	.section	.text._ZN7rocprim17ROCPRIM_304000_NS6detail25onesweep_iteration_kernelINS1_34wrapped_radix_sort_onesweep_configINS0_14default_configElN2at4cuda3cub6detail10OpaqueTypeILi1EEEEELb0EPKlPlPKSA_PSA_mNS0_19identity_decomposerEEEvT1_T2_T3_T4_jPT5_SO_PNS1_23onesweep_lookback_stateET6_jjj,"axG",@progbits,_ZN7rocprim17ROCPRIM_304000_NS6detail25onesweep_iteration_kernelINS1_34wrapped_radix_sort_onesweep_configINS0_14default_configElN2at4cuda3cub6detail10OpaqueTypeILi1EEEEELb0EPKlPlPKSA_PSA_mNS0_19identity_decomposerEEEvT1_T2_T3_T4_jPT5_SO_PNS1_23onesweep_lookback_stateET6_jjj,comdat
.Lfunc_end24:
	.size	_ZN7rocprim17ROCPRIM_304000_NS6detail25onesweep_iteration_kernelINS1_34wrapped_radix_sort_onesweep_configINS0_14default_configElN2at4cuda3cub6detail10OpaqueTypeILi1EEEEELb0EPKlPlPKSA_PSA_mNS0_19identity_decomposerEEEvT1_T2_T3_T4_jPT5_SO_PNS1_23onesweep_lookback_stateET6_jjj, .Lfunc_end24-_ZN7rocprim17ROCPRIM_304000_NS6detail25onesweep_iteration_kernelINS1_34wrapped_radix_sort_onesweep_configINS0_14default_configElN2at4cuda3cub6detail10OpaqueTypeILi1EEEEELb0EPKlPlPKSA_PSA_mNS0_19identity_decomposerEEEvT1_T2_T3_T4_jPT5_SO_PNS1_23onesweep_lookback_stateET6_jjj
                                        ; -- End function
	.section	.AMDGPU.csdata,"",@progbits
; Kernel info:
; codeLenInByte = 18612
; NumSgprs: 78
; NumVgprs: 76
; NumAgprs: 0
; TotalNumVgprs: 76
; ScratchSize: 0
; MemoryBound: 0
; FloatMode: 240
; IeeeMode: 1
; LDSByteSize: 26624 bytes/workgroup (compile time only)
; SGPRBlocks: 9
; VGPRBlocks: 9
; NumSGPRsForWavesPerEU: 78
; NumVGPRsForWavesPerEU: 76
; AccumOffset: 76
; Occupancy: 2
; WaveLimiterHint : 1
; COMPUTE_PGM_RSRC2:SCRATCH_EN: 0
; COMPUTE_PGM_RSRC2:USER_SGPR: 6
; COMPUTE_PGM_RSRC2:TRAP_HANDLER: 0
; COMPUTE_PGM_RSRC2:TGID_X_EN: 1
; COMPUTE_PGM_RSRC2:TGID_Y_EN: 0
; COMPUTE_PGM_RSRC2:TGID_Z_EN: 0
; COMPUTE_PGM_RSRC2:TIDIG_COMP_CNT: 2
; COMPUTE_PGM_RSRC3_GFX90A:ACCUM_OFFSET: 18
; COMPUTE_PGM_RSRC3_GFX90A:TG_SPLIT: 0
	.section	.text._ZN7rocprim17ROCPRIM_304000_NS6detail25onesweep_iteration_kernelINS1_34wrapped_radix_sort_onesweep_configINS0_14default_configElN2at4cuda3cub6detail10OpaqueTypeILi1EEEEELb0EPlSC_PSA_SD_mNS0_19identity_decomposerEEEvT1_T2_T3_T4_jPT5_SK_PNS1_23onesweep_lookback_stateET6_jjj,"axG",@progbits,_ZN7rocprim17ROCPRIM_304000_NS6detail25onesweep_iteration_kernelINS1_34wrapped_radix_sort_onesweep_configINS0_14default_configElN2at4cuda3cub6detail10OpaqueTypeILi1EEEEELb0EPlSC_PSA_SD_mNS0_19identity_decomposerEEEvT1_T2_T3_T4_jPT5_SK_PNS1_23onesweep_lookback_stateET6_jjj,comdat
	.protected	_ZN7rocprim17ROCPRIM_304000_NS6detail25onesweep_iteration_kernelINS1_34wrapped_radix_sort_onesweep_configINS0_14default_configElN2at4cuda3cub6detail10OpaqueTypeILi1EEEEELb0EPlSC_PSA_SD_mNS0_19identity_decomposerEEEvT1_T2_T3_T4_jPT5_SK_PNS1_23onesweep_lookback_stateET6_jjj ; -- Begin function _ZN7rocprim17ROCPRIM_304000_NS6detail25onesweep_iteration_kernelINS1_34wrapped_radix_sort_onesweep_configINS0_14default_configElN2at4cuda3cub6detail10OpaqueTypeILi1EEEEELb0EPlSC_PSA_SD_mNS0_19identity_decomposerEEEvT1_T2_T3_T4_jPT5_SK_PNS1_23onesweep_lookback_stateET6_jjj
	.globl	_ZN7rocprim17ROCPRIM_304000_NS6detail25onesweep_iteration_kernelINS1_34wrapped_radix_sort_onesweep_configINS0_14default_configElN2at4cuda3cub6detail10OpaqueTypeILi1EEEEELb0EPlSC_PSA_SD_mNS0_19identity_decomposerEEEvT1_T2_T3_T4_jPT5_SK_PNS1_23onesweep_lookback_stateET6_jjj
	.p2align	8
	.type	_ZN7rocprim17ROCPRIM_304000_NS6detail25onesweep_iteration_kernelINS1_34wrapped_radix_sort_onesweep_configINS0_14default_configElN2at4cuda3cub6detail10OpaqueTypeILi1EEEEELb0EPlSC_PSA_SD_mNS0_19identity_decomposerEEEvT1_T2_T3_T4_jPT5_SK_PNS1_23onesweep_lookback_stateET6_jjj,@function
_ZN7rocprim17ROCPRIM_304000_NS6detail25onesweep_iteration_kernelINS1_34wrapped_radix_sort_onesweep_configINS0_14default_configElN2at4cuda3cub6detail10OpaqueTypeILi1EEEEELb0EPlSC_PSA_SD_mNS0_19identity_decomposerEEEvT1_T2_T3_T4_jPT5_SK_PNS1_23onesweep_lookback_stateET6_jjj: ; @_ZN7rocprim17ROCPRIM_304000_NS6detail25onesweep_iteration_kernelINS1_34wrapped_radix_sort_onesweep_configINS0_14default_configElN2at4cuda3cub6detail10OpaqueTypeILi1EEEEELb0EPlSC_PSA_SD_mNS0_19identity_decomposerEEEvT1_T2_T3_T4_jPT5_SK_PNS1_23onesweep_lookback_stateET6_jjj
; %bb.0:
	s_load_dwordx4 s[68:71], s[4:5], 0x44
	s_load_dwordx8 s[56:63], s[4:5], 0x0
	s_load_dwordx4 s[64:67], s[4:5], 0x28
	s_load_dwordx2 s[72:73], s[4:5], 0x38
	s_mov_b32 s7, s6
	s_waitcnt lgkmcnt(0)
	s_cmp_ge_u32 s6, s70
	s_mul_i32 s54, s6, 0xc00
	v_mbcnt_lo_u32_b32 v1, -1, 0
	s_cbranch_scc0 .LBB25_129
; %bb.1:
	s_load_dword s2, s[4:5], 0x20
	s_mulk_i32 s70, 0xf400
	s_mov_b32 s55, 0
	s_lshl_b64 s[0:1], s[54:55], 3
	v_and_b32_e32 v2, 0x3ff, v0
	s_waitcnt lgkmcnt(0)
	s_add_i32 s70, s70, s2
	s_add_u32 s0, s56, s0
	v_mbcnt_hi_u32_b32 v32, -1, v1
	s_addc_u32 s1, s57, s1
	v_and_b32_e32 v3, 0xc0, v2
	v_lshlrev_b32_e32 v4, 3, v32
	v_mul_u32_u24_e32 v33, 12, v3
	v_mov_b32_e32 v5, s1
	v_add_co_u32_e32 v4, vcc, s0, v4
	s_mov_b32 s8, -1
	v_addc_co_u32_e32 v5, vcc, 0, v5, vcc
	v_lshlrev_b32_e32 v6, 3, v33
	s_brev_b32 s9, -2
	v_add_co_u32_e32 v4, vcc, v4, v6
	v_or_b32_e32 v28, v32, v33
	v_addc_co_u32_e32 v5, vcc, 0, v5, vcc
	v_cmp_gt_u32_e64 s[0:1], s70, v28
	v_pk_mov_b32 v[6:7], s[8:9], s[8:9] op_sel:[0,1]
	s_and_saveexec_b64 s[2:3], s[0:1]
	s_cbranch_execz .LBB25_3
; %bb.2:
	global_load_dwordx2 v[6:7], v[4:5], off
.LBB25_3:
	s_or_b64 exec, exec, s[2:3]
	v_add_u32_e32 v8, 64, v28
	v_cmp_gt_u32_e64 s[2:3], s70, v8
	v_pk_mov_b32 v[8:9], s[8:9], s[8:9] op_sel:[0,1]
	s_and_saveexec_b64 s[8:9], s[2:3]
	s_cbranch_execz .LBB25_5
; %bb.4:
	global_load_dwordx2 v[8:9], v[4:5], off offset:512
.LBB25_5:
	s_or_b64 exec, exec, s[8:9]
	s_mov_b32 s10, -1
	v_add_u32_e32 v10, 0x80, v28
	s_brev_b32 s11, -2
	v_cmp_gt_u32_e64 s[50:51], s70, v10
	v_pk_mov_b32 v[10:11], s[10:11], s[10:11] op_sel:[0,1]
	s_and_saveexec_b64 s[8:9], s[50:51]
	s_cbranch_execz .LBB25_7
; %bb.6:
	global_load_dwordx2 v[10:11], v[4:5], off offset:1024
.LBB25_7:
	s_or_b64 exec, exec, s[8:9]
	v_add_u32_e32 v12, 0xc0, v28
	v_cmp_gt_u32_e64 s[8:9], s70, v12
	v_pk_mov_b32 v[12:13], s[10:11], s[10:11] op_sel:[0,1]
	s_and_saveexec_b64 s[10:11], s[8:9]
	s_cbranch_execz .LBB25_9
; %bb.8:
	global_load_dwordx2 v[12:13], v[4:5], off offset:1536
.LBB25_9:
	s_or_b64 exec, exec, s[10:11]
	s_mov_b32 s14, -1
	v_add_u32_e32 v14, 0x100, v28
	s_brev_b32 s15, -2
	v_cmp_gt_u32_e64 s[10:11], s70, v14
	v_pk_mov_b32 v[14:15], s[14:15], s[14:15] op_sel:[0,1]
	s_and_saveexec_b64 s[12:13], s[10:11]
	s_cbranch_execz .LBB25_11
; %bb.10:
	global_load_dwordx2 v[14:15], v[4:5], off offset:2048
.LBB25_11:
	;; [unrolled: 20-line block ×3, first 2 shown]
	s_or_b64 exec, exec, s[16:17]
	v_add_u32_e32 v20, 0x1c0, v28
	v_cmp_gt_u32_e64 s[16:17], s70, v20
	v_pk_mov_b32 v[20:21], s[18:19], s[18:19] op_sel:[0,1]
	s_and_saveexec_b64 s[18:19], s[16:17]
	s_cbranch_execz .LBB25_17
; %bb.16:
	global_load_dwordx2 v[20:21], v[4:5], off offset:3584
.LBB25_17:
	s_or_b64 exec, exec, s[18:19]
	s_mov_b32 s22, -1
	v_add_u32_e32 v22, 0x200, v28
	s_brev_b32 s23, -2
	v_cmp_gt_u32_e64 s[18:19], s70, v22
	v_pk_mov_b32 v[22:23], s[22:23], s[22:23] op_sel:[0,1]
	s_and_saveexec_b64 s[20:21], s[18:19]
	s_cbranch_execz .LBB25_19
; %bb.18:
	v_add_co_u32_e32 v22, vcc, 0x1000, v4
	v_addc_co_u32_e32 v23, vcc, 0, v5, vcc
	global_load_dwordx2 v[22:23], v[22:23], off
.LBB25_19:
	s_or_b64 exec, exec, s[20:21]
	v_add_u32_e32 v24, 0x240, v28
	v_cmp_gt_u32_e64 s[20:21], s70, v24
	v_pk_mov_b32 v[24:25], s[22:23], s[22:23] op_sel:[0,1]
	s_and_saveexec_b64 s[22:23], s[20:21]
	s_cbranch_execz .LBB25_21
; %bb.20:
	v_add_co_u32_e32 v24, vcc, 0x1000, v4
	v_addc_co_u32_e32 v25, vcc, 0, v5, vcc
	global_load_dwordx2 v[24:25], v[24:25], off offset:512
.LBB25_21:
	s_or_b64 exec, exec, s[22:23]
	s_mov_b32 s26, -1
	v_add_u32_e32 v26, 0x280, v28
	s_brev_b32 s27, -2
	v_cmp_gt_u32_e64 s[22:23], s70, v26
	v_pk_mov_b32 v[26:27], s[26:27], s[26:27] op_sel:[0,1]
	s_and_saveexec_b64 s[24:25], s[22:23]
	s_cbranch_execz .LBB25_23
; %bb.22:
	v_add_co_u32_e32 v26, vcc, 0x1000, v4
	v_addc_co_u32_e32 v27, vcc, 0, v5, vcc
	global_load_dwordx2 v[26:27], v[26:27], off offset:1024
.LBB25_23:
	s_or_b64 exec, exec, s[24:25]
	v_add_u32_e32 v28, 0x2c0, v28
	v_cmp_gt_u32_e64 s[24:25], s70, v28
	v_pk_mov_b32 v[28:29], s[26:27], s[26:27] op_sel:[0,1]
	s_and_saveexec_b64 s[26:27], s[24:25]
	s_cbranch_execz .LBB25_25
; %bb.24:
	v_add_co_u32_e32 v4, vcc, 0x1000, v4
	v_addc_co_u32_e32 v5, vcc, 0, v5, vcc
	global_load_dwordx2 v[28:29], v[4:5], off offset:1536
.LBB25_25:
	s_or_b64 exec, exec, s[26:27]
	s_load_dword s26, s[4:5], 0x5c
	s_load_dword s33, s[4:5], 0x50
	s_add_u32 s27, s4, 0x50
	s_addc_u32 s28, s5, 0
	v_mov_b32_e32 v4, 0
	s_waitcnt lgkmcnt(0)
	s_lshr_b32 s29, s26, 16
	s_cmp_lt_u32 s6, s33
	s_cselect_b32 s26, 12, 18
	s_add_u32 s26, s27, s26
	s_addc_u32 s27, s28, 0
	global_load_ushort v35, v4, s[26:27]
	s_waitcnt vmcnt(1)
	v_xor_b32_e32 v7, 0x80000000, v7
	v_mul_u32_u24_e32 v30, 5, v2
	s_lshl_b32 s26, -1, s69
	v_lshlrev_b32_e32 v34, 2, v30
	v_lshrrev_b64 v[30:31], s68, v[6:7]
	s_not_b32 s55, s26
	v_and_b32_e32 v30, s55, v30
	v_and_b32_e32 v37, 1, v30
	v_bfe_u32 v5, v0, 10, 10
	v_bfe_u32 v36, v0, 20, 10
	v_add_co_u32_e32 v38, vcc, -1, v37
	v_mad_u32_u24 v31, v36, s29, v5
	v_lshlrev_b32_e32 v5, 30, v30
	v_addc_co_u32_e64 v39, s[26:27], 0, -1, vcc
	v_cmp_ne_u32_e32 vcc, 0, v37
	v_cmp_gt_i64_e64 s[26:27], 0, v[4:5]
	v_not_b32_e32 v37, v5
	v_lshlrev_b32_e32 v5, 29, v30
	v_xor_b32_e32 v39, vcc_hi, v39
	v_xor_b32_e32 v38, vcc_lo, v38
	v_ashrrev_i32_e32 v37, 31, v37
	v_cmp_gt_i64_e32 vcc, 0, v[4:5]
	v_not_b32_e32 v40, v5
	v_lshlrev_b32_e32 v5, 28, v30
	v_and_b32_e32 v39, exec_hi, v39
	v_and_b32_e32 v38, exec_lo, v38
	v_xor_b32_e32 v41, s27, v37
	v_xor_b32_e32 v37, s26, v37
	v_ashrrev_i32_e32 v40, 31, v40
	v_cmp_gt_i64_e64 s[26:27], 0, v[4:5]
	v_not_b32_e32 v42, v5
	v_lshlrev_b32_e32 v5, 27, v30
	v_and_b32_e32 v39, v39, v41
	v_and_b32_e32 v37, v38, v37
	v_xor_b32_e32 v38, vcc_hi, v40
	v_xor_b32_e32 v40, vcc_lo, v40
	v_ashrrev_i32_e32 v41, 31, v42
	v_cmp_gt_i64_e32 vcc, 0, v[4:5]
	v_not_b32_e32 v42, v5
	v_lshlrev_b32_e32 v5, 26, v30
	v_and_b32_e32 v38, v39, v38
	v_and_b32_e32 v37, v37, v40
	v_xor_b32_e32 v39, s27, v41
	v_xor_b32_e32 v40, s26, v41
	v_ashrrev_i32_e32 v41, 31, v42
	v_cmp_gt_i64_e64 s[26:27], 0, v[4:5]
	v_not_b32_e32 v42, v5
	v_lshlrev_b32_e32 v5, 25, v30
	v_and_b32_e32 v38, v38, v39
	v_and_b32_e32 v37, v37, v40
	v_xor_b32_e32 v39, vcc_hi, v41
	v_xor_b32_e32 v40, vcc_lo, v41
	v_ashrrev_i32_e32 v41, 31, v42
	v_not_b32_e32 v42, v5
	v_lshl_add_u32 v36, v30, 2, v30
	v_cmp_gt_i64_e32 vcc, 0, v[4:5]
	v_lshlrev_b32_e32 v5, 24, v30
	v_and_b32_e32 v30, v38, v39
	v_and_b32_e32 v37, v37, v40
	v_xor_b32_e32 v38, s27, v41
	v_ashrrev_i32_e32 v40, 31, v42
	v_xor_b32_e32 v39, s26, v41
	v_cmp_gt_i64_e64 s[26:27], 0, v[4:5]
	v_not_b32_e32 v5, v5
	v_and_b32_e32 v30, v30, v38
	v_xor_b32_e32 v38, vcc_hi, v40
	v_and_b32_e32 v37, v37, v39
	v_xor_b32_e32 v39, vcc_lo, v40
	v_and_b32_e32 v38, v30, v38
	v_ashrrev_i32_e32 v5, 31, v5
	v_and_b32_e32 v37, v37, v39
	ds_write2_b32 v34, v4, v4 offset0:4 offset1:5
	ds_write2_b32 v34, v4, v4 offset0:6 offset1:7
	ds_write_b32 v34, v4 offset:32
	s_waitcnt lgkmcnt(0)
	s_barrier
	s_waitcnt lgkmcnt(0)
	; wave barrier
	s_waitcnt vmcnt(0)
	v_mad_u64_u32 v[30:31], s[28:29], v31, v35, v[2:3]
	v_lshrrev_b32_e32 v43, 6, v30
	v_xor_b32_e32 v30, s27, v5
	v_xor_b32_e32 v5, s26, v5
	v_and_b32_e32 v31, v38, v30
	v_and_b32_e32 v30, v37, v5
	v_mbcnt_lo_u32_b32 v5, v30, 0
	v_mbcnt_hi_u32_b32 v35, v31, v5
	v_cmp_eq_u32_e32 vcc, 0, v35
	v_cmp_ne_u64_e64 s[26:27], 0, v[30:31]
	v_add_lshl_u32 v36, v43, v36, 2
	s_and_b64 s[28:29], s[26:27], vcc
	s_and_saveexec_b64 s[26:27], s[28:29]
	s_cbranch_execz .LBB25_27
; %bb.26:
	v_bcnt_u32_b32 v5, v30, 0
	v_bcnt_u32_b32 v5, v31, v5
	ds_write_b32 v36, v5 offset:16
.LBB25_27:
	s_or_b64 exec, exec, s[26:27]
	v_xor_b32_e32 v9, 0x80000000, v9
	v_lshrrev_b64 v[30:31], s68, v[8:9]
	v_and_b32_e32 v30, s55, v30
	v_lshl_add_u32 v5, v30, 2, v30
	v_add_lshl_u32 v38, v43, v5, 2
	v_and_b32_e32 v5, 1, v30
	v_add_co_u32_e32 v31, vcc, -1, v5
	v_addc_co_u32_e64 v39, s[26:27], 0, -1, vcc
	v_cmp_ne_u32_e32 vcc, 0, v5
	v_xor_b32_e32 v5, vcc_hi, v39
	v_and_b32_e32 v39, exec_hi, v5
	v_lshlrev_b32_e32 v5, 30, v30
	v_xor_b32_e32 v31, vcc_lo, v31
	v_cmp_gt_i64_e32 vcc, 0, v[4:5]
	v_not_b32_e32 v5, v5
	v_ashrrev_i32_e32 v5, 31, v5
	v_and_b32_e32 v31, exec_lo, v31
	v_xor_b32_e32 v40, vcc_hi, v5
	v_xor_b32_e32 v5, vcc_lo, v5
	v_and_b32_e32 v31, v31, v5
	v_lshlrev_b32_e32 v5, 29, v30
	v_cmp_gt_i64_e32 vcc, 0, v[4:5]
	v_not_b32_e32 v5, v5
	v_ashrrev_i32_e32 v5, 31, v5
	v_and_b32_e32 v39, v39, v40
	v_xor_b32_e32 v40, vcc_hi, v5
	v_xor_b32_e32 v5, vcc_lo, v5
	v_and_b32_e32 v31, v31, v5
	v_lshlrev_b32_e32 v5, 28, v30
	v_cmp_gt_i64_e32 vcc, 0, v[4:5]
	v_not_b32_e32 v5, v5
	v_ashrrev_i32_e32 v5, 31, v5
	v_and_b32_e32 v39, v39, v40
	;; [unrolled: 8-line block ×5, first 2 shown]
	v_xor_b32_e32 v40, vcc_hi, v5
	v_xor_b32_e32 v5, vcc_lo, v5
	v_and_b32_e32 v31, v31, v5
	v_lshlrev_b32_e32 v5, 24, v30
	v_cmp_gt_i64_e32 vcc, 0, v[4:5]
	v_not_b32_e32 v4, v5
	v_ashrrev_i32_e32 v4, 31, v4
	v_xor_b32_e32 v5, vcc_hi, v4
	v_xor_b32_e32 v4, vcc_lo, v4
	; wave barrier
	ds_read_b32 v37, v38 offset:16
	v_and_b32_e32 v39, v39, v40
	v_and_b32_e32 v4, v31, v4
	;; [unrolled: 1-line block ×3, first 2 shown]
	v_mbcnt_lo_u32_b32 v30, v4, 0
	v_mbcnt_hi_u32_b32 v39, v5, v30
	v_cmp_eq_u32_e32 vcc, 0, v39
	v_cmp_ne_u64_e64 s[26:27], 0, v[4:5]
	s_and_b64 s[28:29], s[26:27], vcc
	; wave barrier
	s_and_saveexec_b64 s[26:27], s[28:29]
	s_cbranch_execz .LBB25_29
; %bb.28:
	v_bcnt_u32_b32 v4, v4, 0
	v_bcnt_u32_b32 v4, v5, v4
	s_waitcnt lgkmcnt(0)
	v_add_u32_e32 v4, v37, v4
	ds_write_b32 v38, v4 offset:16
.LBB25_29:
	s_or_b64 exec, exec, s[26:27]
	v_xor_b32_e32 v11, 0x80000000, v11
	v_lshrrev_b64 v[4:5], s68, v[10:11]
	v_and_b32_e32 v30, s55, v4
	v_and_b32_e32 v5, 1, v30
	v_add_co_u32_e32 v31, vcc, -1, v5
	v_addc_co_u32_e64 v42, s[26:27], 0, -1, vcc
	v_cmp_ne_u32_e32 vcc, 0, v5
	v_lshl_add_u32 v4, v30, 2, v30
	v_xor_b32_e32 v5, vcc_hi, v42
	v_add_lshl_u32 v41, v43, v4, 2
	v_mov_b32_e32 v4, 0
	v_and_b32_e32 v42, exec_hi, v5
	v_lshlrev_b32_e32 v5, 30, v30
	v_xor_b32_e32 v31, vcc_lo, v31
	v_cmp_gt_i64_e32 vcc, 0, v[4:5]
	v_not_b32_e32 v5, v5
	v_ashrrev_i32_e32 v5, 31, v5
	v_and_b32_e32 v31, exec_lo, v31
	v_xor_b32_e32 v44, vcc_hi, v5
	v_xor_b32_e32 v5, vcc_lo, v5
	v_and_b32_e32 v31, v31, v5
	v_lshlrev_b32_e32 v5, 29, v30
	v_cmp_gt_i64_e32 vcc, 0, v[4:5]
	v_not_b32_e32 v5, v5
	v_ashrrev_i32_e32 v5, 31, v5
	v_and_b32_e32 v42, v42, v44
	v_xor_b32_e32 v44, vcc_hi, v5
	v_xor_b32_e32 v5, vcc_lo, v5
	v_and_b32_e32 v31, v31, v5
	v_lshlrev_b32_e32 v5, 28, v30
	v_cmp_gt_i64_e32 vcc, 0, v[4:5]
	v_not_b32_e32 v5, v5
	v_ashrrev_i32_e32 v5, 31, v5
	v_and_b32_e32 v42, v42, v44
	;; [unrolled: 8-line block ×5, first 2 shown]
	v_xor_b32_e32 v44, vcc_hi, v5
	v_xor_b32_e32 v5, vcc_lo, v5
	v_and_b32_e32 v42, v42, v44
	v_and_b32_e32 v44, v31, v5
	v_lshlrev_b32_e32 v5, 24, v30
	v_cmp_gt_i64_e32 vcc, 0, v[4:5]
	v_not_b32_e32 v5, v5
	v_ashrrev_i32_e32 v5, 31, v5
	v_xor_b32_e32 v30, vcc_hi, v5
	v_xor_b32_e32 v5, vcc_lo, v5
	; wave barrier
	ds_read_b32 v40, v41 offset:16
	v_and_b32_e32 v31, v42, v30
	v_and_b32_e32 v30, v44, v5
	v_mbcnt_lo_u32_b32 v5, v30, 0
	v_mbcnt_hi_u32_b32 v42, v31, v5
	v_cmp_eq_u32_e32 vcc, 0, v42
	v_cmp_ne_u64_e64 s[26:27], 0, v[30:31]
	s_and_b64 s[28:29], s[26:27], vcc
	; wave barrier
	s_and_saveexec_b64 s[26:27], s[28:29]
	s_cbranch_execz .LBB25_31
; %bb.30:
	v_bcnt_u32_b32 v5, v30, 0
	v_bcnt_u32_b32 v5, v31, v5
	s_waitcnt lgkmcnt(0)
	v_add_u32_e32 v5, v40, v5
	ds_write_b32 v41, v5 offset:16
.LBB25_31:
	s_or_b64 exec, exec, s[26:27]
	v_xor_b32_e32 v13, 0x80000000, v13
	v_lshrrev_b64 v[30:31], s68, v[12:13]
	v_and_b32_e32 v30, s55, v30
	v_lshl_add_u32 v5, v30, 2, v30
	v_add_lshl_u32 v45, v43, v5, 2
	v_and_b32_e32 v5, 1, v30
	v_add_co_u32_e32 v31, vcc, -1, v5
	v_addc_co_u32_e64 v46, s[26:27], 0, -1, vcc
	v_cmp_ne_u32_e32 vcc, 0, v5
	v_xor_b32_e32 v5, vcc_hi, v46
	v_and_b32_e32 v46, exec_hi, v5
	v_lshlrev_b32_e32 v5, 30, v30
	v_xor_b32_e32 v31, vcc_lo, v31
	v_cmp_gt_i64_e32 vcc, 0, v[4:5]
	v_not_b32_e32 v5, v5
	v_ashrrev_i32_e32 v5, 31, v5
	v_and_b32_e32 v31, exec_lo, v31
	v_xor_b32_e32 v47, vcc_hi, v5
	v_xor_b32_e32 v5, vcc_lo, v5
	v_and_b32_e32 v31, v31, v5
	v_lshlrev_b32_e32 v5, 29, v30
	v_cmp_gt_i64_e32 vcc, 0, v[4:5]
	v_not_b32_e32 v5, v5
	v_ashrrev_i32_e32 v5, 31, v5
	v_and_b32_e32 v46, v46, v47
	v_xor_b32_e32 v47, vcc_hi, v5
	v_xor_b32_e32 v5, vcc_lo, v5
	v_and_b32_e32 v31, v31, v5
	v_lshlrev_b32_e32 v5, 28, v30
	v_cmp_gt_i64_e32 vcc, 0, v[4:5]
	v_not_b32_e32 v5, v5
	v_ashrrev_i32_e32 v5, 31, v5
	v_and_b32_e32 v46, v46, v47
	;; [unrolled: 8-line block ×5, first 2 shown]
	v_xor_b32_e32 v47, vcc_hi, v5
	v_xor_b32_e32 v5, vcc_lo, v5
	v_and_b32_e32 v31, v31, v5
	v_lshlrev_b32_e32 v5, 24, v30
	v_cmp_gt_i64_e32 vcc, 0, v[4:5]
	v_not_b32_e32 v4, v5
	v_ashrrev_i32_e32 v4, 31, v4
	v_xor_b32_e32 v5, vcc_hi, v4
	v_xor_b32_e32 v4, vcc_lo, v4
	; wave barrier
	ds_read_b32 v44, v45 offset:16
	v_and_b32_e32 v46, v46, v47
	v_and_b32_e32 v4, v31, v4
	;; [unrolled: 1-line block ×3, first 2 shown]
	v_mbcnt_lo_u32_b32 v30, v4, 0
	v_mbcnt_hi_u32_b32 v46, v5, v30
	v_cmp_eq_u32_e32 vcc, 0, v46
	v_cmp_ne_u64_e64 s[26:27], 0, v[4:5]
	s_and_b64 s[28:29], s[26:27], vcc
	; wave barrier
	s_and_saveexec_b64 s[26:27], s[28:29]
	s_cbranch_execz .LBB25_33
; %bb.32:
	v_bcnt_u32_b32 v4, v4, 0
	v_bcnt_u32_b32 v4, v5, v4
	s_waitcnt lgkmcnt(0)
	v_add_u32_e32 v4, v44, v4
	ds_write_b32 v45, v4 offset:16
.LBB25_33:
	s_or_b64 exec, exec, s[26:27]
	v_xor_b32_e32 v15, 0x80000000, v15
	v_lshrrev_b64 v[4:5], s68, v[14:15]
	v_and_b32_e32 v30, s55, v4
	v_and_b32_e32 v5, 1, v30
	v_add_co_u32_e32 v31, vcc, -1, v5
	v_addc_co_u32_e64 v49, s[26:27], 0, -1, vcc
	v_cmp_ne_u32_e32 vcc, 0, v5
	v_lshl_add_u32 v4, v30, 2, v30
	v_xor_b32_e32 v5, vcc_hi, v49
	v_add_lshl_u32 v48, v43, v4, 2
	v_mov_b32_e32 v4, 0
	v_and_b32_e32 v49, exec_hi, v5
	v_lshlrev_b32_e32 v5, 30, v30
	v_xor_b32_e32 v31, vcc_lo, v31
	v_cmp_gt_i64_e32 vcc, 0, v[4:5]
	v_not_b32_e32 v5, v5
	v_ashrrev_i32_e32 v5, 31, v5
	v_and_b32_e32 v31, exec_lo, v31
	v_xor_b32_e32 v50, vcc_hi, v5
	v_xor_b32_e32 v5, vcc_lo, v5
	v_and_b32_e32 v31, v31, v5
	v_lshlrev_b32_e32 v5, 29, v30
	v_cmp_gt_i64_e32 vcc, 0, v[4:5]
	v_not_b32_e32 v5, v5
	v_ashrrev_i32_e32 v5, 31, v5
	v_and_b32_e32 v49, v49, v50
	v_xor_b32_e32 v50, vcc_hi, v5
	v_xor_b32_e32 v5, vcc_lo, v5
	v_and_b32_e32 v31, v31, v5
	v_lshlrev_b32_e32 v5, 28, v30
	v_cmp_gt_i64_e32 vcc, 0, v[4:5]
	v_not_b32_e32 v5, v5
	v_ashrrev_i32_e32 v5, 31, v5
	v_and_b32_e32 v49, v49, v50
	;; [unrolled: 8-line block ×5, first 2 shown]
	v_xor_b32_e32 v50, vcc_hi, v5
	v_xor_b32_e32 v5, vcc_lo, v5
	v_and_b32_e32 v49, v49, v50
	v_and_b32_e32 v50, v31, v5
	v_lshlrev_b32_e32 v5, 24, v30
	v_cmp_gt_i64_e32 vcc, 0, v[4:5]
	v_not_b32_e32 v5, v5
	v_ashrrev_i32_e32 v5, 31, v5
	v_xor_b32_e32 v30, vcc_hi, v5
	v_xor_b32_e32 v5, vcc_lo, v5
	; wave barrier
	ds_read_b32 v47, v48 offset:16
	v_and_b32_e32 v31, v49, v30
	v_and_b32_e32 v30, v50, v5
	v_mbcnt_lo_u32_b32 v5, v30, 0
	v_mbcnt_hi_u32_b32 v49, v31, v5
	v_cmp_eq_u32_e32 vcc, 0, v49
	v_cmp_ne_u64_e64 s[26:27], 0, v[30:31]
	s_and_b64 s[28:29], s[26:27], vcc
	; wave barrier
	s_and_saveexec_b64 s[26:27], s[28:29]
	s_cbranch_execz .LBB25_35
; %bb.34:
	v_bcnt_u32_b32 v5, v30, 0
	v_bcnt_u32_b32 v5, v31, v5
	s_waitcnt lgkmcnt(0)
	v_add_u32_e32 v5, v47, v5
	ds_write_b32 v48, v5 offset:16
.LBB25_35:
	s_or_b64 exec, exec, s[26:27]
	v_xor_b32_e32 v17, 0x80000000, v17
	v_lshrrev_b64 v[30:31], s68, v[16:17]
	v_and_b32_e32 v30, s55, v30
	v_lshl_add_u32 v5, v30, 2, v30
	v_add_lshl_u32 v51, v43, v5, 2
	v_and_b32_e32 v5, 1, v30
	v_add_co_u32_e32 v31, vcc, -1, v5
	v_addc_co_u32_e64 v52, s[26:27], 0, -1, vcc
	v_cmp_ne_u32_e32 vcc, 0, v5
	v_xor_b32_e32 v5, vcc_hi, v52
	v_and_b32_e32 v52, exec_hi, v5
	v_lshlrev_b32_e32 v5, 30, v30
	v_xor_b32_e32 v31, vcc_lo, v31
	v_cmp_gt_i64_e32 vcc, 0, v[4:5]
	v_not_b32_e32 v5, v5
	v_ashrrev_i32_e32 v5, 31, v5
	v_and_b32_e32 v31, exec_lo, v31
	v_xor_b32_e32 v53, vcc_hi, v5
	v_xor_b32_e32 v5, vcc_lo, v5
	v_and_b32_e32 v31, v31, v5
	v_lshlrev_b32_e32 v5, 29, v30
	v_cmp_gt_i64_e32 vcc, 0, v[4:5]
	v_not_b32_e32 v5, v5
	v_ashrrev_i32_e32 v5, 31, v5
	v_and_b32_e32 v52, v52, v53
	v_xor_b32_e32 v53, vcc_hi, v5
	v_xor_b32_e32 v5, vcc_lo, v5
	v_and_b32_e32 v31, v31, v5
	v_lshlrev_b32_e32 v5, 28, v30
	v_cmp_gt_i64_e32 vcc, 0, v[4:5]
	v_not_b32_e32 v5, v5
	v_ashrrev_i32_e32 v5, 31, v5
	v_and_b32_e32 v52, v52, v53
	;; [unrolled: 8-line block ×5, first 2 shown]
	v_xor_b32_e32 v53, vcc_hi, v5
	v_xor_b32_e32 v5, vcc_lo, v5
	v_and_b32_e32 v31, v31, v5
	v_lshlrev_b32_e32 v5, 24, v30
	v_cmp_gt_i64_e32 vcc, 0, v[4:5]
	v_not_b32_e32 v4, v5
	v_ashrrev_i32_e32 v4, 31, v4
	v_xor_b32_e32 v5, vcc_hi, v4
	v_xor_b32_e32 v4, vcc_lo, v4
	; wave barrier
	ds_read_b32 v50, v51 offset:16
	v_and_b32_e32 v52, v52, v53
	v_and_b32_e32 v4, v31, v4
	;; [unrolled: 1-line block ×3, first 2 shown]
	v_mbcnt_lo_u32_b32 v30, v4, 0
	v_mbcnt_hi_u32_b32 v52, v5, v30
	v_cmp_eq_u32_e32 vcc, 0, v52
	v_cmp_ne_u64_e64 s[26:27], 0, v[4:5]
	s_and_b64 s[28:29], s[26:27], vcc
	; wave barrier
	s_and_saveexec_b64 s[26:27], s[28:29]
	s_cbranch_execz .LBB25_37
; %bb.36:
	v_bcnt_u32_b32 v4, v4, 0
	v_bcnt_u32_b32 v4, v5, v4
	s_waitcnt lgkmcnt(0)
	v_add_u32_e32 v4, v50, v4
	ds_write_b32 v51, v4 offset:16
.LBB25_37:
	s_or_b64 exec, exec, s[26:27]
	v_xor_b32_e32 v19, 0x80000000, v19
	v_lshrrev_b64 v[4:5], s68, v[18:19]
	v_and_b32_e32 v30, s55, v4
	v_and_b32_e32 v5, 1, v30
	v_add_co_u32_e32 v31, vcc, -1, v5
	v_addc_co_u32_e64 v55, s[26:27], 0, -1, vcc
	v_cmp_ne_u32_e32 vcc, 0, v5
	v_lshl_add_u32 v4, v30, 2, v30
	v_xor_b32_e32 v5, vcc_hi, v55
	v_add_lshl_u32 v54, v43, v4, 2
	v_mov_b32_e32 v4, 0
	v_and_b32_e32 v55, exec_hi, v5
	v_lshlrev_b32_e32 v5, 30, v30
	v_xor_b32_e32 v31, vcc_lo, v31
	v_cmp_gt_i64_e32 vcc, 0, v[4:5]
	v_not_b32_e32 v5, v5
	v_ashrrev_i32_e32 v5, 31, v5
	v_and_b32_e32 v31, exec_lo, v31
	v_xor_b32_e32 v56, vcc_hi, v5
	v_xor_b32_e32 v5, vcc_lo, v5
	v_and_b32_e32 v31, v31, v5
	v_lshlrev_b32_e32 v5, 29, v30
	v_cmp_gt_i64_e32 vcc, 0, v[4:5]
	v_not_b32_e32 v5, v5
	v_ashrrev_i32_e32 v5, 31, v5
	v_and_b32_e32 v55, v55, v56
	v_xor_b32_e32 v56, vcc_hi, v5
	v_xor_b32_e32 v5, vcc_lo, v5
	v_and_b32_e32 v31, v31, v5
	v_lshlrev_b32_e32 v5, 28, v30
	v_cmp_gt_i64_e32 vcc, 0, v[4:5]
	v_not_b32_e32 v5, v5
	v_ashrrev_i32_e32 v5, 31, v5
	v_and_b32_e32 v55, v55, v56
	v_xor_b32_e32 v56, vcc_hi, v5
	v_xor_b32_e32 v5, vcc_lo, v5
	v_and_b32_e32 v31, v31, v5
	v_lshlrev_b32_e32 v5, 27, v30
	v_cmp_gt_i64_e32 vcc, 0, v[4:5]
	v_not_b32_e32 v5, v5
	v_ashrrev_i32_e32 v5, 31, v5
	v_and_b32_e32 v55, v55, v56
	v_xor_b32_e32 v56, vcc_hi, v5
	v_xor_b32_e32 v5, vcc_lo, v5
	v_and_b32_e32 v31, v31, v5
	v_lshlrev_b32_e32 v5, 26, v30
	v_cmp_gt_i64_e32 vcc, 0, v[4:5]
	v_not_b32_e32 v5, v5
	v_ashrrev_i32_e32 v5, 31, v5
	v_and_b32_e32 v55, v55, v56
	v_xor_b32_e32 v56, vcc_hi, v5
	v_xor_b32_e32 v5, vcc_lo, v5
	v_and_b32_e32 v31, v31, v5
	v_lshlrev_b32_e32 v5, 25, v30
	v_cmp_gt_i64_e32 vcc, 0, v[4:5]
	v_not_b32_e32 v5, v5
	v_ashrrev_i32_e32 v5, 31, v5
	v_and_b32_e32 v55, v55, v56
	v_xor_b32_e32 v56, vcc_hi, v5
	v_xor_b32_e32 v5, vcc_lo, v5
	v_and_b32_e32 v55, v55, v56
	v_and_b32_e32 v56, v31, v5
	v_lshlrev_b32_e32 v5, 24, v30
	v_cmp_gt_i64_e32 vcc, 0, v[4:5]
	v_not_b32_e32 v5, v5
	v_ashrrev_i32_e32 v5, 31, v5
	v_xor_b32_e32 v30, vcc_hi, v5
	v_xor_b32_e32 v5, vcc_lo, v5
	; wave barrier
	ds_read_b32 v53, v54 offset:16
	v_and_b32_e32 v31, v55, v30
	v_and_b32_e32 v30, v56, v5
	v_mbcnt_lo_u32_b32 v5, v30, 0
	v_mbcnt_hi_u32_b32 v55, v31, v5
	v_cmp_eq_u32_e32 vcc, 0, v55
	v_cmp_ne_u64_e64 s[26:27], 0, v[30:31]
	s_and_b64 s[28:29], s[26:27], vcc
	; wave barrier
	s_and_saveexec_b64 s[26:27], s[28:29]
	s_cbranch_execz .LBB25_39
; %bb.38:
	v_bcnt_u32_b32 v5, v30, 0
	v_bcnt_u32_b32 v5, v31, v5
	s_waitcnt lgkmcnt(0)
	v_add_u32_e32 v5, v53, v5
	ds_write_b32 v54, v5 offset:16
.LBB25_39:
	s_or_b64 exec, exec, s[26:27]
	v_xor_b32_e32 v21, 0x80000000, v21
	v_lshrrev_b64 v[30:31], s68, v[20:21]
	v_and_b32_e32 v30, s55, v30
	v_lshl_add_u32 v5, v30, 2, v30
	v_add_lshl_u32 v57, v43, v5, 2
	v_and_b32_e32 v5, 1, v30
	v_add_co_u32_e32 v31, vcc, -1, v5
	v_addc_co_u32_e64 v58, s[26:27], 0, -1, vcc
	v_cmp_ne_u32_e32 vcc, 0, v5
	v_xor_b32_e32 v5, vcc_hi, v58
	v_and_b32_e32 v58, exec_hi, v5
	v_lshlrev_b32_e32 v5, 30, v30
	v_xor_b32_e32 v31, vcc_lo, v31
	v_cmp_gt_i64_e32 vcc, 0, v[4:5]
	v_not_b32_e32 v5, v5
	v_ashrrev_i32_e32 v5, 31, v5
	v_and_b32_e32 v31, exec_lo, v31
	v_xor_b32_e32 v59, vcc_hi, v5
	v_xor_b32_e32 v5, vcc_lo, v5
	v_and_b32_e32 v31, v31, v5
	v_lshlrev_b32_e32 v5, 29, v30
	v_cmp_gt_i64_e32 vcc, 0, v[4:5]
	v_not_b32_e32 v5, v5
	v_ashrrev_i32_e32 v5, 31, v5
	v_and_b32_e32 v58, v58, v59
	v_xor_b32_e32 v59, vcc_hi, v5
	v_xor_b32_e32 v5, vcc_lo, v5
	v_and_b32_e32 v31, v31, v5
	v_lshlrev_b32_e32 v5, 28, v30
	v_cmp_gt_i64_e32 vcc, 0, v[4:5]
	v_not_b32_e32 v5, v5
	v_ashrrev_i32_e32 v5, 31, v5
	v_and_b32_e32 v58, v58, v59
	;; [unrolled: 8-line block ×5, first 2 shown]
	v_xor_b32_e32 v59, vcc_hi, v5
	v_xor_b32_e32 v5, vcc_lo, v5
	v_and_b32_e32 v31, v31, v5
	v_lshlrev_b32_e32 v5, 24, v30
	v_cmp_gt_i64_e32 vcc, 0, v[4:5]
	v_not_b32_e32 v4, v5
	v_ashrrev_i32_e32 v4, 31, v4
	v_xor_b32_e32 v5, vcc_hi, v4
	v_xor_b32_e32 v4, vcc_lo, v4
	; wave barrier
	ds_read_b32 v56, v57 offset:16
	v_and_b32_e32 v58, v58, v59
	v_and_b32_e32 v4, v31, v4
	;; [unrolled: 1-line block ×3, first 2 shown]
	v_mbcnt_lo_u32_b32 v30, v4, 0
	v_mbcnt_hi_u32_b32 v58, v5, v30
	v_cmp_eq_u32_e32 vcc, 0, v58
	v_cmp_ne_u64_e64 s[26:27], 0, v[4:5]
	s_and_b64 s[28:29], s[26:27], vcc
	; wave barrier
	s_and_saveexec_b64 s[26:27], s[28:29]
	s_cbranch_execz .LBB25_41
; %bb.40:
	v_bcnt_u32_b32 v4, v4, 0
	v_bcnt_u32_b32 v4, v5, v4
	s_waitcnt lgkmcnt(0)
	v_add_u32_e32 v4, v56, v4
	ds_write_b32 v57, v4 offset:16
.LBB25_41:
	s_or_b64 exec, exec, s[26:27]
	v_xor_b32_e32 v23, 0x80000000, v23
	v_lshrrev_b64 v[4:5], s68, v[22:23]
	v_and_b32_e32 v30, s55, v4
	v_and_b32_e32 v5, 1, v30
	v_add_co_u32_e32 v31, vcc, -1, v5
	v_addc_co_u32_e64 v61, s[26:27], 0, -1, vcc
	v_cmp_ne_u32_e32 vcc, 0, v5
	v_lshl_add_u32 v4, v30, 2, v30
	v_xor_b32_e32 v5, vcc_hi, v61
	v_add_lshl_u32 v60, v43, v4, 2
	v_mov_b32_e32 v4, 0
	v_and_b32_e32 v61, exec_hi, v5
	v_lshlrev_b32_e32 v5, 30, v30
	v_xor_b32_e32 v31, vcc_lo, v31
	v_cmp_gt_i64_e32 vcc, 0, v[4:5]
	v_not_b32_e32 v5, v5
	v_ashrrev_i32_e32 v5, 31, v5
	v_and_b32_e32 v31, exec_lo, v31
	v_xor_b32_e32 v62, vcc_hi, v5
	v_xor_b32_e32 v5, vcc_lo, v5
	v_and_b32_e32 v31, v31, v5
	v_lshlrev_b32_e32 v5, 29, v30
	v_cmp_gt_i64_e32 vcc, 0, v[4:5]
	v_not_b32_e32 v5, v5
	v_ashrrev_i32_e32 v5, 31, v5
	v_and_b32_e32 v61, v61, v62
	v_xor_b32_e32 v62, vcc_hi, v5
	v_xor_b32_e32 v5, vcc_lo, v5
	v_and_b32_e32 v31, v31, v5
	v_lshlrev_b32_e32 v5, 28, v30
	v_cmp_gt_i64_e32 vcc, 0, v[4:5]
	v_not_b32_e32 v5, v5
	v_ashrrev_i32_e32 v5, 31, v5
	v_and_b32_e32 v61, v61, v62
	;; [unrolled: 8-line block ×5, first 2 shown]
	v_xor_b32_e32 v62, vcc_hi, v5
	v_xor_b32_e32 v5, vcc_lo, v5
	v_and_b32_e32 v61, v61, v62
	v_and_b32_e32 v62, v31, v5
	v_lshlrev_b32_e32 v5, 24, v30
	v_cmp_gt_i64_e32 vcc, 0, v[4:5]
	v_not_b32_e32 v5, v5
	v_ashrrev_i32_e32 v5, 31, v5
	v_xor_b32_e32 v30, vcc_hi, v5
	v_xor_b32_e32 v5, vcc_lo, v5
	; wave barrier
	ds_read_b32 v59, v60 offset:16
	v_and_b32_e32 v31, v61, v30
	v_and_b32_e32 v30, v62, v5
	v_mbcnt_lo_u32_b32 v5, v30, 0
	v_mbcnt_hi_u32_b32 v61, v31, v5
	v_cmp_eq_u32_e32 vcc, 0, v61
	v_cmp_ne_u64_e64 s[26:27], 0, v[30:31]
	s_and_b64 s[28:29], s[26:27], vcc
	; wave barrier
	s_and_saveexec_b64 s[26:27], s[28:29]
	s_cbranch_execz .LBB25_43
; %bb.42:
	v_bcnt_u32_b32 v5, v30, 0
	v_bcnt_u32_b32 v5, v31, v5
	s_waitcnt lgkmcnt(0)
	v_add_u32_e32 v5, v59, v5
	ds_write_b32 v60, v5 offset:16
.LBB25_43:
	s_or_b64 exec, exec, s[26:27]
	v_xor_b32_e32 v25, 0x80000000, v25
	v_lshrrev_b64 v[30:31], s68, v[24:25]
	v_and_b32_e32 v30, s55, v30
	v_lshl_add_u32 v5, v30, 2, v30
	v_add_lshl_u32 v63, v43, v5, 2
	v_and_b32_e32 v5, 1, v30
	v_add_co_u32_e32 v31, vcc, -1, v5
	v_addc_co_u32_e64 v64, s[26:27], 0, -1, vcc
	v_cmp_ne_u32_e32 vcc, 0, v5
	v_xor_b32_e32 v5, vcc_hi, v64
	v_and_b32_e32 v64, exec_hi, v5
	v_lshlrev_b32_e32 v5, 30, v30
	v_xor_b32_e32 v31, vcc_lo, v31
	v_cmp_gt_i64_e32 vcc, 0, v[4:5]
	v_not_b32_e32 v5, v5
	v_ashrrev_i32_e32 v5, 31, v5
	v_and_b32_e32 v31, exec_lo, v31
	v_xor_b32_e32 v65, vcc_hi, v5
	v_xor_b32_e32 v5, vcc_lo, v5
	v_and_b32_e32 v31, v31, v5
	v_lshlrev_b32_e32 v5, 29, v30
	v_cmp_gt_i64_e32 vcc, 0, v[4:5]
	v_not_b32_e32 v5, v5
	v_ashrrev_i32_e32 v5, 31, v5
	v_and_b32_e32 v64, v64, v65
	v_xor_b32_e32 v65, vcc_hi, v5
	v_xor_b32_e32 v5, vcc_lo, v5
	v_and_b32_e32 v31, v31, v5
	v_lshlrev_b32_e32 v5, 28, v30
	v_cmp_gt_i64_e32 vcc, 0, v[4:5]
	v_not_b32_e32 v5, v5
	v_ashrrev_i32_e32 v5, 31, v5
	v_and_b32_e32 v64, v64, v65
	;; [unrolled: 8-line block ×5, first 2 shown]
	v_xor_b32_e32 v65, vcc_hi, v5
	v_xor_b32_e32 v5, vcc_lo, v5
	v_and_b32_e32 v31, v31, v5
	v_lshlrev_b32_e32 v5, 24, v30
	v_cmp_gt_i64_e32 vcc, 0, v[4:5]
	v_not_b32_e32 v4, v5
	v_ashrrev_i32_e32 v4, 31, v4
	v_xor_b32_e32 v5, vcc_hi, v4
	v_xor_b32_e32 v4, vcc_lo, v4
	; wave barrier
	ds_read_b32 v62, v63 offset:16
	v_and_b32_e32 v64, v64, v65
	v_and_b32_e32 v4, v31, v4
	;; [unrolled: 1-line block ×3, first 2 shown]
	v_mbcnt_lo_u32_b32 v30, v4, 0
	v_mbcnt_hi_u32_b32 v64, v5, v30
	v_cmp_eq_u32_e32 vcc, 0, v64
	v_cmp_ne_u64_e64 s[26:27], 0, v[4:5]
	s_and_b64 s[28:29], s[26:27], vcc
	; wave barrier
	s_and_saveexec_b64 s[26:27], s[28:29]
	s_cbranch_execz .LBB25_45
; %bb.44:
	v_bcnt_u32_b32 v4, v4, 0
	v_bcnt_u32_b32 v4, v5, v4
	s_waitcnt lgkmcnt(0)
	v_add_u32_e32 v4, v62, v4
	ds_write_b32 v63, v4 offset:16
.LBB25_45:
	s_or_b64 exec, exec, s[26:27]
	v_xor_b32_e32 v27, 0x80000000, v27
	v_lshrrev_b64 v[4:5], s68, v[26:27]
	v_and_b32_e32 v30, s55, v4
	v_and_b32_e32 v5, 1, v30
	v_add_co_u32_e32 v31, vcc, -1, v5
	v_addc_co_u32_e64 v67, s[26:27], 0, -1, vcc
	v_cmp_ne_u32_e32 vcc, 0, v5
	v_lshl_add_u32 v4, v30, 2, v30
	v_xor_b32_e32 v5, vcc_hi, v67
	v_add_lshl_u32 v66, v43, v4, 2
	v_mov_b32_e32 v4, 0
	v_and_b32_e32 v67, exec_hi, v5
	v_lshlrev_b32_e32 v5, 30, v30
	v_xor_b32_e32 v31, vcc_lo, v31
	v_cmp_gt_i64_e32 vcc, 0, v[4:5]
	v_not_b32_e32 v5, v5
	v_ashrrev_i32_e32 v5, 31, v5
	v_and_b32_e32 v31, exec_lo, v31
	v_xor_b32_e32 v68, vcc_hi, v5
	v_xor_b32_e32 v5, vcc_lo, v5
	v_and_b32_e32 v31, v31, v5
	v_lshlrev_b32_e32 v5, 29, v30
	v_cmp_gt_i64_e32 vcc, 0, v[4:5]
	v_not_b32_e32 v5, v5
	v_ashrrev_i32_e32 v5, 31, v5
	v_and_b32_e32 v67, v67, v68
	v_xor_b32_e32 v68, vcc_hi, v5
	v_xor_b32_e32 v5, vcc_lo, v5
	v_and_b32_e32 v31, v31, v5
	v_lshlrev_b32_e32 v5, 28, v30
	v_cmp_gt_i64_e32 vcc, 0, v[4:5]
	v_not_b32_e32 v5, v5
	v_ashrrev_i32_e32 v5, 31, v5
	v_and_b32_e32 v67, v67, v68
	;; [unrolled: 8-line block ×5, first 2 shown]
	v_xor_b32_e32 v68, vcc_hi, v5
	v_xor_b32_e32 v5, vcc_lo, v5
	v_and_b32_e32 v67, v67, v68
	v_and_b32_e32 v68, v31, v5
	v_lshlrev_b32_e32 v5, 24, v30
	v_cmp_gt_i64_e32 vcc, 0, v[4:5]
	v_not_b32_e32 v5, v5
	v_ashrrev_i32_e32 v5, 31, v5
	v_xor_b32_e32 v30, vcc_hi, v5
	v_xor_b32_e32 v5, vcc_lo, v5
	; wave barrier
	ds_read_b32 v65, v66 offset:16
	v_and_b32_e32 v31, v67, v30
	v_and_b32_e32 v30, v68, v5
	v_mbcnt_lo_u32_b32 v5, v30, 0
	v_mbcnt_hi_u32_b32 v67, v31, v5
	v_cmp_eq_u32_e32 vcc, 0, v67
	v_cmp_ne_u64_e64 s[26:27], 0, v[30:31]
	s_and_b64 s[28:29], s[26:27], vcc
	; wave barrier
	s_and_saveexec_b64 s[26:27], s[28:29]
	s_cbranch_execz .LBB25_47
; %bb.46:
	v_bcnt_u32_b32 v5, v30, 0
	v_bcnt_u32_b32 v5, v31, v5
	s_waitcnt lgkmcnt(0)
	v_add_u32_e32 v5, v65, v5
	ds_write_b32 v66, v5 offset:16
.LBB25_47:
	s_or_b64 exec, exec, s[26:27]
	v_xor_b32_e32 v29, 0x80000000, v29
	v_lshrrev_b64 v[30:31], s68, v[28:29]
	v_and_b32_e32 v30, s55, v30
	v_lshl_add_u32 v5, v30, 2, v30
	v_add_lshl_u32 v68, v43, v5, 2
	v_and_b32_e32 v5, 1, v30
	v_add_co_u32_e32 v31, vcc, -1, v5
	v_addc_co_u32_e64 v70, s[26:27], 0, -1, vcc
	v_cmp_ne_u32_e32 vcc, 0, v5
	v_xor_b32_e32 v5, vcc_hi, v70
	v_and_b32_e32 v70, exec_hi, v5
	v_lshlrev_b32_e32 v5, 30, v30
	v_xor_b32_e32 v31, vcc_lo, v31
	v_cmp_gt_i64_e32 vcc, 0, v[4:5]
	v_not_b32_e32 v5, v5
	v_ashrrev_i32_e32 v5, 31, v5
	v_and_b32_e32 v31, exec_lo, v31
	v_xor_b32_e32 v71, vcc_hi, v5
	v_xor_b32_e32 v5, vcc_lo, v5
	v_and_b32_e32 v31, v31, v5
	v_lshlrev_b32_e32 v5, 29, v30
	v_cmp_gt_i64_e32 vcc, 0, v[4:5]
	v_not_b32_e32 v5, v5
	v_ashrrev_i32_e32 v5, 31, v5
	v_and_b32_e32 v70, v70, v71
	v_xor_b32_e32 v71, vcc_hi, v5
	v_xor_b32_e32 v5, vcc_lo, v5
	v_and_b32_e32 v31, v31, v5
	v_lshlrev_b32_e32 v5, 28, v30
	v_cmp_gt_i64_e32 vcc, 0, v[4:5]
	v_not_b32_e32 v5, v5
	v_ashrrev_i32_e32 v5, 31, v5
	v_and_b32_e32 v70, v70, v71
	;; [unrolled: 8-line block ×5, first 2 shown]
	v_xor_b32_e32 v71, vcc_hi, v5
	v_xor_b32_e32 v5, vcc_lo, v5
	v_and_b32_e32 v31, v31, v5
	v_lshlrev_b32_e32 v5, 24, v30
	v_cmp_gt_i64_e32 vcc, 0, v[4:5]
	v_not_b32_e32 v4, v5
	v_ashrrev_i32_e32 v4, 31, v4
	v_xor_b32_e32 v5, vcc_hi, v4
	v_xor_b32_e32 v4, vcc_lo, v4
	; wave barrier
	ds_read_b32 v43, v68 offset:16
	v_and_b32_e32 v70, v70, v71
	v_and_b32_e32 v4, v31, v4
	;; [unrolled: 1-line block ×3, first 2 shown]
	v_mbcnt_lo_u32_b32 v30, v4, 0
	v_mbcnt_hi_u32_b32 v70, v5, v30
	v_cmp_eq_u32_e32 vcc, 0, v70
	v_cmp_ne_u64_e64 s[26:27], 0, v[4:5]
	v_add_u32_e32 v69, 16, v34
	s_and_b64 s[28:29], s[26:27], vcc
	; wave barrier
	s_and_saveexec_b64 s[26:27], s[28:29]
	s_cbranch_execz .LBB25_49
; %bb.48:
	v_bcnt_u32_b32 v4, v4, 0
	v_bcnt_u32_b32 v4, v5, v4
	s_waitcnt lgkmcnt(0)
	v_add_u32_e32 v4, v43, v4
	ds_write_b32 v68, v4 offset:16
.LBB25_49:
	s_or_b64 exec, exec, s[26:27]
	; wave barrier
	s_waitcnt lgkmcnt(0)
	s_barrier
	ds_read2_b32 v[30:31], v34 offset0:4 offset1:5
	ds_read2_b32 v[4:5], v69 offset0:2 offset1:3
	ds_read_b32 v71, v69 offset:16
	v_min_u32_e32 v3, 0xc0, v3
	v_or_b32_e32 v3, 63, v3
	s_waitcnt lgkmcnt(1)
	v_add3_u32 v72, v31, v30, v4
	s_waitcnt lgkmcnt(0)
	v_add3_u32 v71, v72, v5, v71
	v_and_b32_e32 v72, 15, v32
	v_cmp_ne_u32_e32 vcc, 0, v72
	v_mov_b32_dpp v73, v71 row_shr:1 row_mask:0xf bank_mask:0xf
	v_cndmask_b32_e32 v73, 0, v73, vcc
	v_add_u32_e32 v71, v73, v71
	v_cmp_lt_u32_e32 vcc, 1, v72
	s_nop 0
	v_mov_b32_dpp v73, v71 row_shr:2 row_mask:0xf bank_mask:0xf
	v_cndmask_b32_e32 v73, 0, v73, vcc
	v_add_u32_e32 v71, v71, v73
	v_cmp_lt_u32_e32 vcc, 3, v72
	s_nop 0
	;; [unrolled: 5-line block ×3, first 2 shown]
	v_mov_b32_dpp v73, v71 row_shr:8 row_mask:0xf bank_mask:0xf
	v_cndmask_b32_e32 v72, 0, v73, vcc
	v_add_u32_e32 v71, v71, v72
	v_bfe_i32 v73, v32, 4, 1
	v_cmp_lt_u32_e32 vcc, 31, v32
	v_mov_b32_dpp v72, v71 row_bcast:15 row_mask:0xf bank_mask:0xf
	v_and_b32_e32 v72, v73, v72
	v_add_u32_e32 v71, v71, v72
	s_nop 1
	v_mov_b32_dpp v72, v71 row_bcast:31 row_mask:0xf bank_mask:0xf
	v_cndmask_b32_e32 v72, 0, v72, vcc
	v_add_u32_e32 v71, v71, v72
	v_lshrrev_b32_e32 v72, 6, v2
	v_cmp_eq_u32_e32 vcc, v3, v2
	s_and_saveexec_b64 s[26:27], vcc
	s_cbranch_execz .LBB25_51
; %bb.50:
	v_lshlrev_b32_e32 v3, 2, v72
	ds_write_b32 v3, v71
.LBB25_51:
	s_or_b64 exec, exec, s[26:27]
	v_cmp_gt_u32_e32 vcc, 4, v2
	s_waitcnt lgkmcnt(0)
	s_barrier
	s_and_saveexec_b64 s[26:27], vcc
	s_cbranch_execz .LBB25_53
; %bb.52:
	v_lshlrev_b32_e32 v3, 2, v2
	ds_read_b32 v73, v3
	v_and_b32_e32 v74, 3, v32
	v_cmp_ne_u32_e32 vcc, 0, v74
	s_waitcnt lgkmcnt(0)
	v_mov_b32_dpp v75, v73 row_shr:1 row_mask:0xf bank_mask:0xf
	v_cndmask_b32_e32 v75, 0, v75, vcc
	v_add_u32_e32 v73, v75, v73
	v_cmp_lt_u32_e32 vcc, 1, v74
	s_nop 0
	v_mov_b32_dpp v75, v73 row_shr:2 row_mask:0xf bank_mask:0xf
	v_cndmask_b32_e32 v74, 0, v75, vcc
	v_add_u32_e32 v73, v73, v74
	ds_write_b32 v3, v73
.LBB25_53:
	s_or_b64 exec, exec, s[26:27]
	v_cmp_lt_u32_e32 vcc, 63, v2
	v_mov_b32_e32 v3, 0
	s_waitcnt lgkmcnt(0)
	s_barrier
	s_and_saveexec_b64 s[26:27], vcc
	s_cbranch_execz .LBB25_55
; %bb.54:
	v_lshl_add_u32 v3, v72, 2, -4
	ds_read_b32 v3, v3
.LBB25_55:
	s_or_b64 exec, exec, s[26:27]
	v_add_u32_e32 v72, -1, v32
	v_and_b32_e32 v73, 64, v32
	v_cmp_lt_i32_e32 vcc, v72, v73
	v_cndmask_b32_e32 v72, v72, v32, vcc
	s_waitcnt lgkmcnt(0)
	v_add_u32_e32 v71, v3, v71
	v_lshlrev_b32_e32 v72, 2, v72
	ds_bpermute_b32 v71, v72, v71
	v_cmp_eq_u32_e32 vcc, 0, v32
	s_movk_i32 s26, 0x100
	s_waitcnt lgkmcnt(0)
	v_cndmask_b32_e32 v3, v71, v3, vcc
	v_cmp_ne_u32_e32 vcc, 0, v2
	v_cndmask_b32_e32 v3, 0, v3, vcc
	v_add_u32_e32 v30, v3, v30
	v_add_u32_e32 v31, v30, v31
	;; [unrolled: 1-line block ×4, first 2 shown]
	ds_write2_b32 v34, v3, v30 offset0:4 offset1:5
	ds_write2_b32 v69, v31, v4 offset0:2 offset1:3
	ds_write_b32 v69, v5 offset:16
	s_waitcnt lgkmcnt(0)
	s_barrier
	ds_read_b32 v5, v38 offset:16
	ds_read_b32 v38, v41 offset:16
	;; [unrolled: 1-line block ×13, first 2 shown]
	v_add_u32_e32 v31, 1, v2
	v_cmp_ne_u32_e32 vcc, s26, v31
	v_mov_b32_e32 v3, 0xc00
	s_and_saveexec_b64 s[26:27], vcc
	s_cbranch_execz .LBB25_57
; %bb.56:
	v_mul_u32_u24_e32 v3, 5, v31
	v_lshlrev_b32_e32 v3, 2, v3
	ds_read_b32 v3, v3 offset:16
.LBB25_57:
	s_or_b64 exec, exec, s[26:27]
	s_waitcnt lgkmcnt(1)
	v_add_u32_e32 v30, v30, v35
	v_add3_u32 v31, v39, v37, v5
	v_lshlrev_b32_e32 v5, 3, v30
	v_add3_u32 v34, v42, v40, v38
	s_waitcnt lgkmcnt(0)
	s_barrier
	ds_write_b64 v5, v[6:7] offset:2048
	v_lshlrev_b32_e32 v5, 3, v31
	v_add3_u32 v35, v46, v44, v41
	ds_write_b64 v5, v[8:9] offset:2048
	v_lshlrev_b32_e32 v5, 3, v34
	v_add3_u32 v36, v49, v47, v45
	ds_write_b64 v5, v[10:11] offset:2048
	v_lshlrev_b32_e32 v5, 3, v35
	v_add3_u32 v37, v52, v50, v48
	ds_write_b64 v5, v[12:13] offset:2048
	v_lshlrev_b32_e32 v5, 3, v36
	v_add3_u32 v38, v55, v53, v51
	ds_write_b64 v5, v[14:15] offset:2048
	v_lshlrev_b32_e32 v5, 3, v37
	v_add3_u32 v39, v58, v56, v54
	ds_write_b64 v5, v[16:17] offset:2048
	v_lshlrev_b32_e32 v5, 3, v38
	v_add3_u32 v40, v61, v59, v57
	ds_write_b64 v5, v[18:19] offset:2048
	v_lshlrev_b32_e32 v5, 3, v39
	v_add3_u32 v41, v64, v62, v60
	ds_write_b64 v5, v[20:21] offset:2048
	v_lshlrev_b32_e32 v5, 3, v40
	v_add3_u32 v42, v67, v65, v63
	ds_write_b64 v5, v[22:23] offset:2048
	v_lshlrev_b32_e32 v5, 3, v41
	v_lshl_add_u32 v6, s6, 8, v2
	v_mov_b32_e32 v7, 0
	v_add3_u32 v43, v70, v43, v66
	ds_write_b64 v5, v[24:25] offset:2048
	v_lshlrev_b32_e32 v5, 3, v42
	v_lshlrev_b64 v[8:9], 2, v[6:7]
	ds_write_b64 v5, v[26:27] offset:2048
	v_lshlrev_b32_e32 v5, 3, v43
	v_sub_u32_e32 v12, v3, v4
	v_mov_b32_e32 v3, s73
	v_add_co_u32_e32 v8, vcc, s72, v8
	ds_write_b64 v5, v[28:29] offset:2048
	v_addc_co_u32_e32 v9, vcc, v3, v9, vcc
	v_or_b32_e32 v5, 2.0, v12
	s_waitcnt lgkmcnt(0)
	s_barrier
	global_store_dword v[8:9], v5, off
	s_mov_b64 s[26:27], 0
	s_brev_b32 s34, 1
	s_mov_b32 s35, s7
	v_mov_b32_e32 v5, 0
                                        ; implicit-def: $sgpr28_sgpr29
	s_branch .LBB25_59
.LBB25_58:                              ;   in Loop: Header=BB25_59 Depth=1
	s_or_b64 exec, exec, s[28:29]
	v_and_b32_e32 v10, 0x3fffffff, v13
	v_add_u32_e32 v5, v10, v5
	v_cmp_eq_u32_e64 s[28:29], s34, v6
	s_and_b64 s[30:31], exec, s[28:29]
	s_or_b64 s[26:27], s[30:31], s[26:27]
	s_andn2_b64 exec, exec, s[26:27]
	s_cbranch_execz .LBB25_65
.LBB25_59:                              ; =>This Loop Header: Depth=1
                                        ;     Child Loop BB25_62 Depth 2
	s_or_b64 s[28:29], s[28:29], exec
	s_cmp_eq_u32 s35, 0
	s_cbranch_scc1 .LBB25_64
; %bb.60:                               ;   in Loop: Header=BB25_59 Depth=1
	s_add_i32 s35, s35, -1
	v_lshl_add_u32 v6, s35, 8, v2
	v_lshlrev_b64 v[10:11], 2, v[6:7]
	v_add_co_u32_e32 v10, vcc, s72, v10
	v_addc_co_u32_e32 v11, vcc, v3, v11, vcc
	global_load_dword v13, v[10:11], off glc
	s_waitcnt vmcnt(0)
	v_and_b32_e32 v6, -2.0, v13
	v_cmp_eq_u32_e32 vcc, 0, v6
	s_and_saveexec_b64 s[28:29], vcc
	s_cbranch_execz .LBB25_58
; %bb.61:                               ;   in Loop: Header=BB25_59 Depth=1
	s_mov_b64 s[30:31], 0
.LBB25_62:                              ;   Parent Loop BB25_59 Depth=1
                                        ; =>  This Inner Loop Header: Depth=2
	global_load_dword v13, v[10:11], off glc
	s_waitcnt vmcnt(0)
	v_and_b32_e32 v6, -2.0, v13
	v_cmp_ne_u32_e32 vcc, 0, v6
	s_or_b64 s[30:31], vcc, s[30:31]
	s_andn2_b64 exec, exec, s[30:31]
	s_cbranch_execnz .LBB25_62
; %bb.63:                               ;   in Loop: Header=BB25_59 Depth=1
	s_or_b64 exec, exec, s[30:31]
	s_branch .LBB25_58
.LBB25_64:                              ;   in Loop: Header=BB25_59 Depth=1
                                        ; implicit-def: $sgpr35
	s_and_b64 s[30:31], exec, s[28:29]
	s_or_b64 s[26:27], s[30:31], s[26:27]
	s_andn2_b64 exec, exec, s[26:27]
	s_cbranch_execnz .LBB25_59
.LBB25_65:
	s_or_b64 exec, exec, s[26:27]
	v_add_u32_e32 v3, v5, v12
	v_or_b32_e32 v3, 0x80000000, v3
	global_store_dword v[8:9], v3, off
	v_lshlrev_b32_e32 v8, 3, v2
	global_load_dwordx2 v[6:7], v8, s[64:65]
	v_sub_co_u32_e32 v9, vcc, v5, v4
	v_subb_co_u32_e64 v10, s[26:27], 0, 0, vcc
	v_mov_b32_e32 v3, 0
	v_mov_b32_e32 v5, v3
	s_waitcnt vmcnt(0)
	v_add_co_u32_e32 v6, vcc, v9, v6
	v_addc_co_u32_e32 v7, vcc, v10, v7, vcc
	v_cmp_gt_u32_e32 vcc, s70, v2
	ds_write_b64 v8, v[6:7]
	s_waitcnt lgkmcnt(0)
	s_barrier
	s_and_saveexec_b64 s[28:29], vcc
	s_cbranch_execz .LBB25_67
; %bb.66:
	ds_read_b64 v[6:7], v8 offset:2048
	s_waitcnt lgkmcnt(0)
	v_lshrrev_b64 v[10:11], s68, v[6:7]
	v_and_b32_e32 v9, s55, v10
	v_lshlrev_b32_e32 v9, 3, v9
	ds_read_b64 v[10:11], v9
	v_mov_b32_e32 v9, s59
	v_xor_b32_e32 v7, 0x80000000, v7
	s_waitcnt lgkmcnt(0)
	v_lshlrev_b64 v[10:11], 3, v[10:11]
	v_add_co_u32_e64 v10, s[26:27], s58, v10
	v_addc_co_u32_e64 v9, s[26:27], v9, v11, s[26:27]
	v_add_co_u32_e64 v10, s[26:27], v10, v8
	v_addc_co_u32_e64 v11, s[26:27], 0, v9, s[26:27]
	global_store_dwordx2 v[10:11], v[6:7], off
.LBB25_67:
	s_or_b64 exec, exec, s[28:29]
	v_add_u32_e32 v6, 0x100, v2
	v_cmp_gt_u32_e64 s[26:27], s70, v6
	s_and_saveexec_b64 s[30:31], s[26:27]
	s_cbranch_execz .LBB25_69
; %bb.68:
	v_lshlrev_b32_e32 v9, 3, v2
	ds_read_b64 v[6:7], v9 offset:4096
	v_mov_b32_e32 v13, s59
	s_waitcnt lgkmcnt(0)
	v_lshrrev_b64 v[10:11], s68, v[6:7]
	v_and_b32_e32 v10, s55, v10
	v_lshlrev_b32_e32 v10, 3, v10
	ds_read_b64 v[10:11], v10
	v_xor_b32_e32 v7, 0x80000000, v7
	s_waitcnt lgkmcnt(0)
	v_lshlrev_b64 v[10:11], 3, v[10:11]
	v_add_co_u32_e64 v10, s[28:29], s58, v10
	v_addc_co_u32_e64 v11, s[28:29], v13, v11, s[28:29]
	v_add_co_u32_e64 v10, s[28:29], v10, v9
	v_addc_co_u32_e64 v11, s[28:29], 0, v11, s[28:29]
	global_store_dwordx2 v[10:11], v[6:7], off offset:2048
.LBB25_69:
	s_or_b64 exec, exec, s[30:31]
	v_add_u32_e32 v6, 0x200, v2
	v_cmp_gt_u32_e64 s[28:29], s70, v6
	s_and_saveexec_b64 s[34:35], s[28:29]
	s_cbranch_execz .LBB25_71
; %bb.70:
	v_lshlrev_b32_e32 v7, 3, v2
	ds_read_b64 v[10:11], v7 offset:6144
	v_lshlrev_b32_e32 v13, 3, v6
	v_mov_b32_e32 v9, s59
	s_waitcnt lgkmcnt(0)
	v_lshrrev_b64 v[14:15], s68, v[10:11]
	v_and_b32_e32 v7, s55, v14
	v_lshlrev_b32_e32 v7, 3, v7
	ds_read_b64 v[14:15], v7
	v_xor_b32_e32 v11, 0x80000000, v11
	s_waitcnt lgkmcnt(0)
	v_lshlrev_b64 v[6:7], 3, v[14:15]
	v_add_co_u32_e64 v6, s[30:31], s58, v6
	v_addc_co_u32_e64 v7, s[30:31], v9, v7, s[30:31]
	v_add_co_u32_e64 v6, s[30:31], v6, v13
	v_addc_co_u32_e64 v7, s[30:31], 0, v7, s[30:31]
	global_store_dwordx2 v[6:7], v[10:11], off
.LBB25_71:
	s_or_b64 exec, exec, s[34:35]
	v_add_u32_e32 v6, 0x300, v2
	v_cmp_gt_u32_e64 s[30:31], s70, v6
	s_and_saveexec_b64 s[36:37], s[30:31]
	s_cbranch_execz .LBB25_73
; %bb.72:
	v_lshlrev_b32_e32 v7, 3, v2
	ds_read_b64 v[10:11], v7 offset:8192
	v_lshlrev_b32_e32 v13, 3, v6
	v_mov_b32_e32 v9, s59
	s_waitcnt lgkmcnt(0)
	v_lshrrev_b64 v[14:15], s68, v[10:11]
	v_and_b32_e32 v7, s55, v14
	v_lshlrev_b32_e32 v7, 3, v7
	ds_read_b64 v[14:15], v7
	v_xor_b32_e32 v11, 0x80000000, v11
	s_waitcnt lgkmcnt(0)
	v_lshlrev_b64 v[6:7], 3, v[14:15]
	v_add_co_u32_e64 v6, s[34:35], s58, v6
	v_addc_co_u32_e64 v7, s[34:35], v9, v7, s[34:35]
	v_add_co_u32_e64 v6, s[34:35], v6, v13
	v_addc_co_u32_e64 v7, s[34:35], 0, v7, s[34:35]
	global_store_dwordx2 v[6:7], v[10:11], off
.LBB25_73:
	s_or_b64 exec, exec, s[36:37]
	v_or_b32_e32 v6, 0x400, v2
	v_cmp_gt_u32_e64 s[34:35], s70, v6
	s_and_saveexec_b64 s[38:39], s[34:35]
	s_cbranch_execz .LBB25_75
; %bb.74:
	v_lshlrev_b32_e32 v7, 3, v2
	ds_read_b64 v[10:11], v7 offset:10240
	v_lshlrev_b32_e32 v13, 3, v6
	v_mov_b32_e32 v9, s59
	s_waitcnt lgkmcnt(0)
	v_lshrrev_b64 v[14:15], s68, v[10:11]
	v_and_b32_e32 v7, s55, v14
	v_lshlrev_b32_e32 v7, 3, v7
	ds_read_b64 v[14:15], v7
	v_xor_b32_e32 v11, 0x80000000, v11
	s_waitcnt lgkmcnt(0)
	v_lshlrev_b64 v[6:7], 3, v[14:15]
	v_add_co_u32_e64 v6, s[36:37], s58, v6
	v_addc_co_u32_e64 v7, s[36:37], v9, v7, s[36:37]
	v_add_co_u32_e64 v6, s[36:37], v6, v13
	v_addc_co_u32_e64 v7, s[36:37], 0, v7, s[36:37]
	global_store_dwordx2 v[6:7], v[10:11], off
.LBB25_75:
	s_or_b64 exec, exec, s[38:39]
	v_add_u32_e32 v6, 0x500, v2
	v_cmp_gt_u32_e64 s[36:37], s70, v6
	s_and_saveexec_b64 s[40:41], s[36:37]
	s_cbranch_execz .LBB25_77
; %bb.76:
	v_lshlrev_b32_e32 v7, 3, v2
	ds_read_b64 v[10:11], v7 offset:12288
	v_lshlrev_b32_e32 v13, 3, v6
	v_mov_b32_e32 v9, s59
	s_waitcnt lgkmcnt(0)
	v_lshrrev_b64 v[14:15], s68, v[10:11]
	v_and_b32_e32 v7, s55, v14
	v_lshlrev_b32_e32 v7, 3, v7
	ds_read_b64 v[14:15], v7
	v_xor_b32_e32 v11, 0x80000000, v11
	s_waitcnt lgkmcnt(0)
	v_lshlrev_b64 v[6:7], 3, v[14:15]
	v_add_co_u32_e64 v6, s[38:39], s58, v6
	v_addc_co_u32_e64 v7, s[38:39], v9, v7, s[38:39]
	v_add_co_u32_e64 v6, s[38:39], v6, v13
	v_addc_co_u32_e64 v7, s[38:39], 0, v7, s[38:39]
	global_store_dwordx2 v[6:7], v[10:11], off
.LBB25_77:
	s_or_b64 exec, exec, s[40:41]
	v_add_u32_e32 v6, 0x600, v2
	;; [unrolled: 24-line block ×3, first 2 shown]
	v_cmp_gt_u32_e64 s[40:41], s70, v6
	s_and_saveexec_b64 s[44:45], s[40:41]
	s_cbranch_execz .LBB25_81
; %bb.80:
	v_lshlrev_b32_e32 v7, 3, v2
	ds_read_b64 v[10:11], v7 offset:16384
	v_lshlrev_b32_e32 v13, 3, v6
	v_mov_b32_e32 v9, s59
	s_waitcnt lgkmcnt(0)
	v_lshrrev_b64 v[14:15], s68, v[10:11]
	v_and_b32_e32 v7, s55, v14
	v_lshlrev_b32_e32 v7, 3, v7
	ds_read_b64 v[14:15], v7
	v_xor_b32_e32 v11, 0x80000000, v11
	s_waitcnt lgkmcnt(0)
	v_lshlrev_b64 v[6:7], 3, v[14:15]
	v_add_co_u32_e64 v6, s[42:43], s58, v6
	v_addc_co_u32_e64 v7, s[42:43], v9, v7, s[42:43]
	v_add_co_u32_e64 v6, s[42:43], v6, v13
	v_addc_co_u32_e64 v7, s[42:43], 0, v7, s[42:43]
	global_store_dwordx2 v[6:7], v[10:11], off
.LBB25_81:
	s_or_b64 exec, exec, s[44:45]
	v_or_b32_e32 v6, 0x800, v2
	v_cmp_gt_u32_e64 s[42:43], s70, v6
	s_and_saveexec_b64 s[46:47], s[42:43]
	s_cbranch_execz .LBB25_83
; %bb.82:
	v_lshlrev_b32_e32 v7, 3, v2
	ds_read_b64 v[10:11], v7 offset:18432
	v_lshlrev_b32_e32 v13, 3, v6
	v_mov_b32_e32 v9, s59
	s_waitcnt lgkmcnt(0)
	v_lshrrev_b64 v[14:15], s68, v[10:11]
	v_and_b32_e32 v7, s55, v14
	v_lshlrev_b32_e32 v7, 3, v7
	ds_read_b64 v[14:15], v7
	v_xor_b32_e32 v11, 0x80000000, v11
	s_waitcnt lgkmcnt(0)
	v_lshlrev_b64 v[6:7], 3, v[14:15]
	v_add_co_u32_e64 v6, s[44:45], s58, v6
	v_addc_co_u32_e64 v7, s[44:45], v9, v7, s[44:45]
	v_add_co_u32_e64 v6, s[44:45], v6, v13
	v_addc_co_u32_e64 v7, s[44:45], 0, v7, s[44:45]
	global_store_dwordx2 v[6:7], v[10:11], off
.LBB25_83:
	s_or_b64 exec, exec, s[46:47]
	v_add_u32_e32 v6, 0x900, v2
	v_cmp_gt_u32_e64 s[44:45], s70, v6
	s_and_saveexec_b64 s[48:49], s[44:45]
	s_cbranch_execz .LBB25_85
; %bb.84:
	v_lshlrev_b32_e32 v7, 3, v2
	ds_read_b64 v[10:11], v7 offset:20480
	v_lshlrev_b32_e32 v13, 3, v6
	v_mov_b32_e32 v9, s59
	s_waitcnt lgkmcnt(0)
	v_lshrrev_b64 v[14:15], s68, v[10:11]
	v_and_b32_e32 v7, s55, v14
	v_lshlrev_b32_e32 v7, 3, v7
	ds_read_b64 v[14:15], v7
	v_xor_b32_e32 v11, 0x80000000, v11
	s_waitcnt lgkmcnt(0)
	v_lshlrev_b64 v[6:7], 3, v[14:15]
	v_add_co_u32_e64 v6, s[46:47], s58, v6
	v_addc_co_u32_e64 v7, s[46:47], v9, v7, s[46:47]
	v_add_co_u32_e64 v6, s[46:47], v6, v13
	v_addc_co_u32_e64 v7, s[46:47], 0, v7, s[46:47]
	global_store_dwordx2 v[6:7], v[10:11], off
.LBB25_85:
	s_or_b64 exec, exec, s[48:49]
	v_add_u32_e32 v6, 0xa00, v2
	;; [unrolled: 24-line block ×3, first 2 shown]
	v_cmp_gt_u32_e64 s[48:49], s70, v6
	s_and_saveexec_b64 s[70:71], s[48:49]
	s_cbranch_execz .LBB25_89
; %bb.88:
	v_lshlrev_b32_e32 v7, 3, v2
	ds_read_b64 v[10:11], v7 offset:24576
	v_lshlrev_b32_e32 v13, 3, v6
	v_mov_b32_e32 v9, s59
	s_waitcnt lgkmcnt(0)
	v_lshrrev_b64 v[14:15], s68, v[10:11]
	v_and_b32_e32 v7, s55, v14
	v_lshlrev_b32_e32 v7, 3, v7
	ds_read_b64 v[14:15], v7
	v_xor_b32_e32 v11, 0x80000000, v11
	s_waitcnt lgkmcnt(0)
	v_lshlrev_b64 v[6:7], 3, v[14:15]
	v_add_co_u32_e64 v6, s[52:53], s58, v6
	v_addc_co_u32_e64 v7, s[52:53], v9, v7, s[52:53]
	v_add_co_u32_e64 v6, s[52:53], v6, v13
	v_addc_co_u32_e64 v7, s[52:53], 0, v7, s[52:53]
	global_store_dwordx2 v[6:7], v[10:11], off
.LBB25_89:
	s_or_b64 exec, exec, s[70:71]
	s_add_u32 s52, s60, s54
	s_addc_u32 s53, s61, 0
	v_mov_b32_e32 v6, s53
	v_add_co_u32_e64 v7, s[52:53], s52, v32
	v_addc_co_u32_e64 v9, s[52:53], 0, v6, s[52:53]
	v_add_co_u32_e64 v6, s[52:53], v7, v33
	v_addc_co_u32_e64 v7, s[52:53], 0, v9, s[52:53]
                                        ; implicit-def: $vgpr9
	s_and_saveexec_b64 s[52:53], s[0:1]
	s_xor_b64 s[0:1], exec, s[52:53]
	s_cbranch_execnz .LBB25_174
; %bb.90:
	s_or_b64 exec, exec, s[0:1]
                                        ; implicit-def: $vgpr10
	s_and_saveexec_b64 s[0:1], s[2:3]
	s_cbranch_execnz .LBB25_175
.LBB25_91:
	s_or_b64 exec, exec, s[0:1]
                                        ; implicit-def: $vgpr11
	s_and_saveexec_b64 s[0:1], s[50:51]
	s_cbranch_execnz .LBB25_176
.LBB25_92:
	s_or_b64 exec, exec, s[0:1]
                                        ; implicit-def: $vgpr13
	s_and_saveexec_b64 s[0:1], s[8:9]
	s_cbranch_execnz .LBB25_177
.LBB25_93:
	s_or_b64 exec, exec, s[0:1]
                                        ; implicit-def: $vgpr14
	s_and_saveexec_b64 s[0:1], s[10:11]
	s_cbranch_execnz .LBB25_178
.LBB25_94:
	s_or_b64 exec, exec, s[0:1]
                                        ; implicit-def: $vgpr15
	s_and_saveexec_b64 s[0:1], s[12:13]
	s_cbranch_execnz .LBB25_179
.LBB25_95:
	s_or_b64 exec, exec, s[0:1]
                                        ; implicit-def: $vgpr16
	s_and_saveexec_b64 s[0:1], s[14:15]
	s_cbranch_execnz .LBB25_180
.LBB25_96:
	s_or_b64 exec, exec, s[0:1]
                                        ; implicit-def: $vgpr19
	s_and_saveexec_b64 s[0:1], s[16:17]
	s_cbranch_execnz .LBB25_181
.LBB25_97:
	s_or_b64 exec, exec, s[0:1]
                                        ; implicit-def: $vgpr21
	s_and_saveexec_b64 s[0:1], s[18:19]
	s_cbranch_execnz .LBB25_182
.LBB25_98:
	s_or_b64 exec, exec, s[0:1]
                                        ; implicit-def: $vgpr24
	s_and_saveexec_b64 s[0:1], s[20:21]
	s_cbranch_execnz .LBB25_183
.LBB25_99:
	s_or_b64 exec, exec, s[0:1]
                                        ; implicit-def: $vgpr27
	s_and_saveexec_b64 s[0:1], s[22:23]
	s_cbranch_execnz .LBB25_184
.LBB25_100:
	s_or_b64 exec, exec, s[0:1]
                                        ; implicit-def: $vgpr32
	s_and_saveexec_b64 s[0:1], s[24:25]
	s_cbranch_execnz .LBB25_185
.LBB25_101:
	s_or_b64 exec, exec, s[0:1]
                                        ; implicit-def: $vgpr33
	s_and_saveexec_b64 s[0:1], vcc
	s_cbranch_execnz .LBB25_186
.LBB25_102:
	s_or_b64 exec, exec, s[0:1]
                                        ; implicit-def: $vgpr29
	s_and_saveexec_b64 s[0:1], s[26:27]
	s_cbranch_execnz .LBB25_187
.LBB25_103:
	s_or_b64 exec, exec, s[0:1]
                                        ; implicit-def: $vgpr28
	s_and_saveexec_b64 s[0:1], s[28:29]
	s_cbranch_execnz .LBB25_188
.LBB25_104:
	s_or_b64 exec, exec, s[0:1]
                                        ; implicit-def: $vgpr26
	s_and_saveexec_b64 s[0:1], s[30:31]
	s_cbranch_execnz .LBB25_189
.LBB25_105:
	s_or_b64 exec, exec, s[0:1]
                                        ; implicit-def: $vgpr25
	s_and_saveexec_b64 s[0:1], s[34:35]
	s_cbranch_execnz .LBB25_190
.LBB25_106:
	s_or_b64 exec, exec, s[0:1]
                                        ; implicit-def: $vgpr23
	s_and_saveexec_b64 s[0:1], s[36:37]
	s_cbranch_execnz .LBB25_191
.LBB25_107:
	s_or_b64 exec, exec, s[0:1]
                                        ; implicit-def: $vgpr22
	s_and_saveexec_b64 s[0:1], s[38:39]
	s_cbranch_execnz .LBB25_192
.LBB25_108:
	s_or_b64 exec, exec, s[0:1]
                                        ; implicit-def: $vgpr20
	s_and_saveexec_b64 s[0:1], s[40:41]
	s_cbranch_execnz .LBB25_193
.LBB25_109:
	s_or_b64 exec, exec, s[0:1]
                                        ; implicit-def: $vgpr18
	s_and_saveexec_b64 s[0:1], s[42:43]
	s_cbranch_execz .LBB25_111
.LBB25_110:
	v_lshlrev_b32_e32 v6, 3, v2
	ds_read_b64 v[6:7], v6 offset:18432
	s_waitcnt lgkmcnt(0)
	v_lshrrev_b64 v[6:7], s68, v[6:7]
	v_and_b32_e32 v18, s55, v6
.LBB25_111:
	s_or_b64 exec, exec, s[0:1]
	v_mov_b32_e32 v6, 0
	v_mov_b32_e32 v17, 0
	s_and_saveexec_b64 s[0:1], s[44:45]
	s_cbranch_execnz .LBB25_194
; %bb.112:
	s_or_b64 exec, exec, s[0:1]
	s_and_saveexec_b64 s[0:1], s[46:47]
	s_cbranch_execnz .LBB25_195
.LBB25_113:
	s_or_b64 exec, exec, s[0:1]
	v_mov_b32_e32 v7, 0
	s_and_saveexec_b64 s[0:1], s[48:49]
	s_cbranch_execz .LBB25_115
.LBB25_114:
	v_lshlrev_b32_e32 v7, 3, v2
	ds_read_b64 v[44:45], v7 offset:24576
	s_waitcnt lgkmcnt(0)
	v_lshrrev_b64 v[44:45], s68, v[44:45]
	v_and_b32_e32 v7, s55, v44
.LBB25_115:
	s_or_b64 exec, exec, s[0:1]
	s_barrier
	s_waitcnt vmcnt(0)
	ds_write_b8 v30, v9 offset:2048
	ds_write_b8 v31, v10 offset:2048
	;; [unrolled: 1-line block ×12, first 2 shown]
	s_waitcnt lgkmcnt(0)
	s_barrier
	s_and_saveexec_b64 s[0:1], vcc
	s_cbranch_execnz .LBB25_196
; %bb.116:
	s_or_b64 exec, exec, s[0:1]
	s_and_saveexec_b64 s[0:1], s[26:27]
	s_cbranch_execnz .LBB25_197
.LBB25_117:
	s_or_b64 exec, exec, s[0:1]
	s_and_saveexec_b64 s[0:1], s[28:29]
	s_cbranch_execnz .LBB25_198
.LBB25_118:
	s_or_b64 exec, exec, s[0:1]
	s_and_saveexec_b64 s[0:1], s[30:31]
	s_cbranch_execnz .LBB25_199
.LBB25_119:
	s_or_b64 exec, exec, s[0:1]
	s_and_saveexec_b64 s[0:1], s[34:35]
	s_cbranch_execnz .LBB25_200
.LBB25_120:
	s_or_b64 exec, exec, s[0:1]
	s_and_saveexec_b64 s[0:1], s[36:37]
	s_cbranch_execnz .LBB25_201
.LBB25_121:
	s_or_b64 exec, exec, s[0:1]
	s_and_saveexec_b64 s[0:1], s[38:39]
	s_cbranch_execnz .LBB25_202
.LBB25_122:
	s_or_b64 exec, exec, s[0:1]
	s_and_saveexec_b64 s[0:1], s[40:41]
	s_cbranch_execnz .LBB25_203
.LBB25_123:
	s_or_b64 exec, exec, s[0:1]
	s_and_saveexec_b64 s[0:1], s[42:43]
	s_cbranch_execnz .LBB25_204
.LBB25_124:
	s_or_b64 exec, exec, s[0:1]
	s_and_saveexec_b64 s[0:1], s[44:45]
	s_cbranch_execnz .LBB25_205
.LBB25_125:
	s_or_b64 exec, exec, s[0:1]
	s_and_saveexec_b64 s[0:1], s[46:47]
	s_cbranch_execnz .LBB25_206
.LBB25_126:
	s_or_b64 exec, exec, s[0:1]
	s_and_saveexec_b64 s[0:1], s[48:49]
	s_cbranch_execz .LBB25_128
.LBB25_127:
	v_lshlrev_b32_e32 v6, 3, v7
	ds_read_b64 v[6:7], v6
	ds_read_u8 v9, v2 offset:4864
	v_mov_b32_e32 v10, s63
	s_waitcnt lgkmcnt(1)
	v_add_co_u32_e32 v6, vcc, s62, v6
	v_addc_co_u32_e32 v7, vcc, v10, v7, vcc
	v_add_co_u32_e32 v6, vcc, v6, v2
	v_addc_co_u32_e32 v7, vcc, 0, v7, vcc
	s_waitcnt lgkmcnt(0)
	global_store_byte v[6:7], v9, off offset:2816
.LBB25_128:
	s_or_b64 exec, exec, s[0:1]
	s_add_i32 s33, s33, -1
	s_cmp_eq_u32 s6, s33
	s_cselect_b64 s[0:1], -1, 0
	s_branch .LBB25_171
.LBB25_129:
	s_mov_b64 s[0:1], 0
                                        ; implicit-def: $vgpr8
                                        ; implicit-def: $vgpr2_vgpr3
                                        ; implicit-def: $vgpr4_vgpr5
                                        ; implicit-def: $vgpr12
	s_cbranch_execz .LBB25_171
; %bb.130:
	s_mov_b32 s55, 0
	s_lshl_b64 s[0:1], s[54:55], 3
	v_mbcnt_hi_u32_b32 v3, -1, v1
	s_add_u32 s0, s56, s0
	v_lshlrev_b32_e32 v1, 3, v3
	v_add_co_u32_e32 v1, vcc, s0, v1
	s_load_dword s8, s[4:5], 0x50
	s_load_dword s0, s[4:5], 0x5c
	v_and_b32_e32 v2, 0x3ff, v0
	s_addc_u32 s1, s57, s1
	v_and_b32_e32 v32, 0xc0, v2
	v_mul_u32_u24_e32 v30, 12, v32
	v_mov_b32_e32 v5, s1
	v_addc_co_u32_e32 v5, vcc, 0, v5, vcc
	v_lshlrev_b32_e32 v6, 3, v30
	s_add_u32 s1, s4, 0x50
	v_add_co_u32_e32 v8, vcc, v1, v6
	s_addc_u32 s2, s5, 0
	s_waitcnt lgkmcnt(0)
	s_lshr_b32 s3, s0, 16
	v_addc_co_u32_e32 v9, vcc, 0, v5, vcc
	s_cmp_lt_u32 s6, s8
	global_load_dwordx2 v[6:7], v[8:9], off
	s_cselect_b32 s0, 12, 18
	s_add_u32 s0, s1, s0
	v_mov_b32_e32 v4, 0
	s_addc_u32 s1, s2, 0
	global_load_ushort v5, v4, s[0:1]
	v_mul_u32_u24_e32 v10, 5, v2
	v_lshlrev_b32_e32 v31, 2, v10
	ds_write2_b32 v31, v4, v4 offset0:4 offset1:5
	ds_write2_b32 v31, v4, v4 offset0:6 offset1:7
	ds_write_b32 v31, v4 offset:32
	s_movk_i32 s0, 0x1000
	global_load_dwordx2 v[26:27], v[8:9], off offset:512
	global_load_dwordx2 v[24:25], v[8:9], off offset:1024
	;; [unrolled: 1-line block ×7, first 2 shown]
	v_add_co_u32_e32 v28, vcc, s0, v8
	v_bfe_u32 v1, v0, 10, 10
	v_bfe_u32 v0, v0, 20, 10
	v_addc_co_u32_e32 v29, vcc, 0, v9, vcc
	v_mad_u32_u24 v33, v0, s3, v1
	global_load_dwordx2 v[14:15], v[28:29], off
	global_load_dwordx2 v[10:11], v[28:29], off offset:512
	global_load_dwordx2 v[8:9], v[28:29], off offset:1024
	;; [unrolled: 1-line block ×3, first 2 shown]
	s_lshl_b32 s0, -1, s69
	s_not_b32 s9, s0
	s_waitcnt lgkmcnt(0)
	s_barrier
	s_waitcnt lgkmcnt(0)
	; wave barrier
	s_waitcnt vmcnt(12)
	v_xor_b32_e32 v7, 0x80000000, v7
	v_lshrrev_b64 v[28:29], s68, v[6:7]
	v_and_b32_e32 v34, s9, v28
	s_waitcnt vmcnt(11)
	v_mad_u64_u32 v[28:29], s[0:1], v33, v5, v[2:3]
	v_and_b32_e32 v33, 1, v34
	v_lshrrev_b32_e32 v39, 6, v28
	v_add_co_u32_e32 v28, vcc, -1, v33
	v_lshlrev_b32_e32 v5, 30, v34
	v_addc_co_u32_e64 v35, s[0:1], 0, -1, vcc
	v_lshl_add_u32 v29, v34, 2, v34
	v_cmp_ne_u32_e32 vcc, 0, v33
	v_cmp_gt_i64_e64 s[0:1], 0, v[4:5]
	v_not_b32_e32 v36, v5
	v_lshlrev_b32_e32 v5, 29, v34
	v_add_lshl_u32 v33, v39, v29, 2
	v_xor_b32_e32 v29, vcc_hi, v35
	v_xor_b32_e32 v28, vcc_lo, v28
	v_ashrrev_i32_e32 v35, 31, v36
	v_cmp_gt_i64_e32 vcc, 0, v[4:5]
	v_not_b32_e32 v36, v5
	v_lshlrev_b32_e32 v5, 28, v34
	v_and_b32_e32 v29, exec_hi, v29
	v_and_b32_e32 v28, exec_lo, v28
	v_xor_b32_e32 v37, s1, v35
	v_xor_b32_e32 v35, s0, v35
	v_ashrrev_i32_e32 v36, 31, v36
	v_cmp_gt_i64_e64 s[0:1], 0, v[4:5]
	v_not_b32_e32 v5, v5
	v_and_b32_e32 v29, v29, v37
	v_and_b32_e32 v28, v28, v35
	v_xor_b32_e32 v35, vcc_hi, v36
	v_xor_b32_e32 v36, vcc_lo, v36
	v_ashrrev_i32_e32 v5, 31, v5
	v_and_b32_e32 v29, v29, v35
	v_and_b32_e32 v28, v28, v36
	v_xor_b32_e32 v35, s1, v5
	v_xor_b32_e32 v5, s0, v5
	v_and_b32_e32 v28, v28, v5
	v_lshlrev_b32_e32 v5, 27, v34
	v_cmp_gt_i64_e32 vcc, 0, v[4:5]
	v_not_b32_e32 v5, v5
	v_ashrrev_i32_e32 v5, 31, v5
	v_and_b32_e32 v29, v29, v35
	v_xor_b32_e32 v35, vcc_hi, v5
	v_xor_b32_e32 v5, vcc_lo, v5
	v_and_b32_e32 v28, v28, v5
	v_lshlrev_b32_e32 v5, 26, v34
	v_cmp_gt_i64_e32 vcc, 0, v[4:5]
	v_not_b32_e32 v5, v5
	v_ashrrev_i32_e32 v5, 31, v5
	v_and_b32_e32 v29, v29, v35
	v_xor_b32_e32 v35, vcc_hi, v5
	v_xor_b32_e32 v5, vcc_lo, v5
	;; [unrolled: 8-line block ×3, first 2 shown]
	v_and_b32_e32 v28, v28, v5
	v_lshlrev_b32_e32 v5, 24, v34
	v_cmp_gt_i64_e32 vcc, 0, v[4:5]
	v_not_b32_e32 v5, v5
	v_ashrrev_i32_e32 v5, 31, v5
	v_xor_b32_e32 v34, vcc_hi, v5
	v_xor_b32_e32 v5, vcc_lo, v5
	v_and_b32_e32 v29, v29, v35
	v_and_b32_e32 v28, v28, v5
	v_and_b32_e32 v29, v29, v34
	v_mbcnt_lo_u32_b32 v5, v28, 0
	v_mbcnt_hi_u32_b32 v34, v29, v5
	v_cmp_eq_u32_e32 vcc, 0, v34
	v_cmp_ne_u64_e64 s[0:1], 0, v[28:29]
	s_and_b64 s[2:3], s[0:1], vcc
	s_and_saveexec_b64 s[0:1], s[2:3]
	s_cbranch_execz .LBB25_132
; %bb.131:
	v_bcnt_u32_b32 v5, v28, 0
	v_bcnt_u32_b32 v5, v29, v5
	ds_write_b32 v33, v5 offset:16
.LBB25_132:
	s_or_b64 exec, exec, s[0:1]
	s_waitcnt vmcnt(10)
	v_xor_b32_e32 v27, 0x80000000, v27
	v_lshrrev_b64 v[28:29], s68, v[26:27]
	v_and_b32_e32 v28, s9, v28
	v_lshl_add_u32 v5, v28, 2, v28
	v_add_lshl_u32 v36, v39, v5, 2
	v_and_b32_e32 v5, 1, v28
	v_add_co_u32_e32 v29, vcc, -1, v5
	v_addc_co_u32_e64 v37, s[0:1], 0, -1, vcc
	v_cmp_ne_u32_e32 vcc, 0, v5
	v_xor_b32_e32 v5, vcc_hi, v37
	v_and_b32_e32 v37, exec_hi, v5
	v_lshlrev_b32_e32 v5, 30, v28
	v_xor_b32_e32 v29, vcc_lo, v29
	v_cmp_gt_i64_e32 vcc, 0, v[4:5]
	v_not_b32_e32 v5, v5
	v_ashrrev_i32_e32 v5, 31, v5
	v_and_b32_e32 v29, exec_lo, v29
	v_xor_b32_e32 v38, vcc_hi, v5
	v_xor_b32_e32 v5, vcc_lo, v5
	v_and_b32_e32 v29, v29, v5
	v_lshlrev_b32_e32 v5, 29, v28
	v_cmp_gt_i64_e32 vcc, 0, v[4:5]
	v_not_b32_e32 v5, v5
	v_ashrrev_i32_e32 v5, 31, v5
	v_and_b32_e32 v37, v37, v38
	v_xor_b32_e32 v38, vcc_hi, v5
	v_xor_b32_e32 v5, vcc_lo, v5
	v_and_b32_e32 v29, v29, v5
	v_lshlrev_b32_e32 v5, 28, v28
	v_cmp_gt_i64_e32 vcc, 0, v[4:5]
	v_not_b32_e32 v5, v5
	v_ashrrev_i32_e32 v5, 31, v5
	v_and_b32_e32 v37, v37, v38
	;; [unrolled: 8-line block ×5, first 2 shown]
	v_xor_b32_e32 v38, vcc_hi, v5
	v_xor_b32_e32 v5, vcc_lo, v5
	v_and_b32_e32 v29, v29, v5
	v_lshlrev_b32_e32 v5, 24, v28
	v_cmp_gt_i64_e32 vcc, 0, v[4:5]
	v_not_b32_e32 v4, v5
	v_ashrrev_i32_e32 v4, 31, v4
	v_xor_b32_e32 v5, vcc_hi, v4
	v_xor_b32_e32 v4, vcc_lo, v4
	; wave barrier
	ds_read_b32 v35, v36 offset:16
	v_and_b32_e32 v37, v37, v38
	v_and_b32_e32 v4, v29, v4
	;; [unrolled: 1-line block ×3, first 2 shown]
	v_mbcnt_lo_u32_b32 v28, v4, 0
	v_mbcnt_hi_u32_b32 v37, v5, v28
	v_cmp_eq_u32_e32 vcc, 0, v37
	v_cmp_ne_u64_e64 s[0:1], 0, v[4:5]
	s_and_b64 s[2:3], s[0:1], vcc
	; wave barrier
	s_and_saveexec_b64 s[0:1], s[2:3]
	s_cbranch_execz .LBB25_134
; %bb.133:
	v_bcnt_u32_b32 v4, v4, 0
	v_bcnt_u32_b32 v4, v5, v4
	s_waitcnt lgkmcnt(0)
	v_add_u32_e32 v4, v35, v4
	ds_write_b32 v36, v4 offset:16
.LBB25_134:
	s_or_b64 exec, exec, s[0:1]
	s_waitcnt vmcnt(9)
	v_xor_b32_e32 v25, 0x80000000, v25
	v_lshrrev_b64 v[4:5], s68, v[24:25]
	v_and_b32_e32 v28, s9, v4
	v_and_b32_e32 v5, 1, v28
	v_add_co_u32_e32 v29, vcc, -1, v5
	v_addc_co_u32_e64 v41, s[0:1], 0, -1, vcc
	v_cmp_ne_u32_e32 vcc, 0, v5
	v_lshl_add_u32 v4, v28, 2, v28
	v_xor_b32_e32 v5, vcc_hi, v41
	v_add_lshl_u32 v40, v39, v4, 2
	v_mov_b32_e32 v4, 0
	v_and_b32_e32 v41, exec_hi, v5
	v_lshlrev_b32_e32 v5, 30, v28
	v_xor_b32_e32 v29, vcc_lo, v29
	v_cmp_gt_i64_e32 vcc, 0, v[4:5]
	v_not_b32_e32 v5, v5
	v_ashrrev_i32_e32 v5, 31, v5
	v_and_b32_e32 v29, exec_lo, v29
	v_xor_b32_e32 v42, vcc_hi, v5
	v_xor_b32_e32 v5, vcc_lo, v5
	v_and_b32_e32 v29, v29, v5
	v_lshlrev_b32_e32 v5, 29, v28
	v_cmp_gt_i64_e32 vcc, 0, v[4:5]
	v_not_b32_e32 v5, v5
	v_ashrrev_i32_e32 v5, 31, v5
	v_and_b32_e32 v41, v41, v42
	v_xor_b32_e32 v42, vcc_hi, v5
	v_xor_b32_e32 v5, vcc_lo, v5
	v_and_b32_e32 v29, v29, v5
	v_lshlrev_b32_e32 v5, 28, v28
	v_cmp_gt_i64_e32 vcc, 0, v[4:5]
	v_not_b32_e32 v5, v5
	v_ashrrev_i32_e32 v5, 31, v5
	v_and_b32_e32 v41, v41, v42
	;; [unrolled: 8-line block ×5, first 2 shown]
	v_xor_b32_e32 v42, vcc_hi, v5
	v_xor_b32_e32 v5, vcc_lo, v5
	v_and_b32_e32 v41, v41, v42
	v_and_b32_e32 v42, v29, v5
	v_lshlrev_b32_e32 v5, 24, v28
	v_cmp_gt_i64_e32 vcc, 0, v[4:5]
	v_not_b32_e32 v5, v5
	v_ashrrev_i32_e32 v5, 31, v5
	v_xor_b32_e32 v28, vcc_hi, v5
	v_xor_b32_e32 v5, vcc_lo, v5
	; wave barrier
	ds_read_b32 v38, v40 offset:16
	v_and_b32_e32 v29, v41, v28
	v_and_b32_e32 v28, v42, v5
	v_mbcnt_lo_u32_b32 v5, v28, 0
	v_mbcnt_hi_u32_b32 v41, v29, v5
	v_cmp_eq_u32_e32 vcc, 0, v41
	v_cmp_ne_u64_e64 s[0:1], 0, v[28:29]
	s_and_b64 s[2:3], s[0:1], vcc
	; wave barrier
	s_and_saveexec_b64 s[0:1], s[2:3]
	s_cbranch_execz .LBB25_136
; %bb.135:
	v_bcnt_u32_b32 v5, v28, 0
	v_bcnt_u32_b32 v5, v29, v5
	s_waitcnt lgkmcnt(0)
	v_add_u32_e32 v5, v38, v5
	ds_write_b32 v40, v5 offset:16
.LBB25_136:
	s_or_b64 exec, exec, s[0:1]
	s_waitcnt vmcnt(8)
	v_xor_b32_e32 v23, 0x80000000, v23
	v_lshrrev_b64 v[28:29], s68, v[22:23]
	v_and_b32_e32 v28, s9, v28
	v_lshl_add_u32 v5, v28, 2, v28
	v_add_lshl_u32 v43, v39, v5, 2
	v_and_b32_e32 v5, 1, v28
	v_add_co_u32_e32 v29, vcc, -1, v5
	v_addc_co_u32_e64 v44, s[0:1], 0, -1, vcc
	v_cmp_ne_u32_e32 vcc, 0, v5
	v_xor_b32_e32 v5, vcc_hi, v44
	v_and_b32_e32 v44, exec_hi, v5
	v_lshlrev_b32_e32 v5, 30, v28
	v_xor_b32_e32 v29, vcc_lo, v29
	v_cmp_gt_i64_e32 vcc, 0, v[4:5]
	v_not_b32_e32 v5, v5
	v_ashrrev_i32_e32 v5, 31, v5
	v_and_b32_e32 v29, exec_lo, v29
	v_xor_b32_e32 v45, vcc_hi, v5
	v_xor_b32_e32 v5, vcc_lo, v5
	v_and_b32_e32 v29, v29, v5
	v_lshlrev_b32_e32 v5, 29, v28
	v_cmp_gt_i64_e32 vcc, 0, v[4:5]
	v_not_b32_e32 v5, v5
	v_ashrrev_i32_e32 v5, 31, v5
	v_and_b32_e32 v44, v44, v45
	v_xor_b32_e32 v45, vcc_hi, v5
	v_xor_b32_e32 v5, vcc_lo, v5
	v_and_b32_e32 v29, v29, v5
	v_lshlrev_b32_e32 v5, 28, v28
	v_cmp_gt_i64_e32 vcc, 0, v[4:5]
	v_not_b32_e32 v5, v5
	v_ashrrev_i32_e32 v5, 31, v5
	v_and_b32_e32 v44, v44, v45
	;; [unrolled: 8-line block ×5, first 2 shown]
	v_xor_b32_e32 v45, vcc_hi, v5
	v_xor_b32_e32 v5, vcc_lo, v5
	v_and_b32_e32 v29, v29, v5
	v_lshlrev_b32_e32 v5, 24, v28
	v_cmp_gt_i64_e32 vcc, 0, v[4:5]
	v_not_b32_e32 v4, v5
	v_ashrrev_i32_e32 v4, 31, v4
	v_xor_b32_e32 v5, vcc_hi, v4
	v_xor_b32_e32 v4, vcc_lo, v4
	; wave barrier
	ds_read_b32 v42, v43 offset:16
	v_and_b32_e32 v44, v44, v45
	v_and_b32_e32 v4, v29, v4
	;; [unrolled: 1-line block ×3, first 2 shown]
	v_mbcnt_lo_u32_b32 v28, v4, 0
	v_mbcnt_hi_u32_b32 v44, v5, v28
	v_cmp_eq_u32_e32 vcc, 0, v44
	v_cmp_ne_u64_e64 s[0:1], 0, v[4:5]
	s_and_b64 s[2:3], s[0:1], vcc
	; wave barrier
	s_and_saveexec_b64 s[0:1], s[2:3]
	s_cbranch_execz .LBB25_138
; %bb.137:
	v_bcnt_u32_b32 v4, v4, 0
	v_bcnt_u32_b32 v4, v5, v4
	s_waitcnt lgkmcnt(0)
	v_add_u32_e32 v4, v42, v4
	ds_write_b32 v43, v4 offset:16
.LBB25_138:
	s_or_b64 exec, exec, s[0:1]
	s_waitcnt vmcnt(7)
	v_xor_b32_e32 v21, 0x80000000, v21
	v_lshrrev_b64 v[4:5], s68, v[20:21]
	v_and_b32_e32 v28, s9, v4
	v_and_b32_e32 v5, 1, v28
	v_add_co_u32_e32 v29, vcc, -1, v5
	v_addc_co_u32_e64 v47, s[0:1], 0, -1, vcc
	v_cmp_ne_u32_e32 vcc, 0, v5
	v_lshl_add_u32 v4, v28, 2, v28
	v_xor_b32_e32 v5, vcc_hi, v47
	v_add_lshl_u32 v46, v39, v4, 2
	v_mov_b32_e32 v4, 0
	v_and_b32_e32 v47, exec_hi, v5
	v_lshlrev_b32_e32 v5, 30, v28
	v_xor_b32_e32 v29, vcc_lo, v29
	v_cmp_gt_i64_e32 vcc, 0, v[4:5]
	v_not_b32_e32 v5, v5
	v_ashrrev_i32_e32 v5, 31, v5
	v_and_b32_e32 v29, exec_lo, v29
	v_xor_b32_e32 v48, vcc_hi, v5
	v_xor_b32_e32 v5, vcc_lo, v5
	v_and_b32_e32 v29, v29, v5
	v_lshlrev_b32_e32 v5, 29, v28
	v_cmp_gt_i64_e32 vcc, 0, v[4:5]
	v_not_b32_e32 v5, v5
	v_ashrrev_i32_e32 v5, 31, v5
	v_and_b32_e32 v47, v47, v48
	v_xor_b32_e32 v48, vcc_hi, v5
	v_xor_b32_e32 v5, vcc_lo, v5
	v_and_b32_e32 v29, v29, v5
	v_lshlrev_b32_e32 v5, 28, v28
	v_cmp_gt_i64_e32 vcc, 0, v[4:5]
	v_not_b32_e32 v5, v5
	v_ashrrev_i32_e32 v5, 31, v5
	v_and_b32_e32 v47, v47, v48
	;; [unrolled: 8-line block ×5, first 2 shown]
	v_xor_b32_e32 v48, vcc_hi, v5
	v_xor_b32_e32 v5, vcc_lo, v5
	v_and_b32_e32 v47, v47, v48
	v_and_b32_e32 v48, v29, v5
	v_lshlrev_b32_e32 v5, 24, v28
	v_cmp_gt_i64_e32 vcc, 0, v[4:5]
	v_not_b32_e32 v5, v5
	v_ashrrev_i32_e32 v5, 31, v5
	v_xor_b32_e32 v28, vcc_hi, v5
	v_xor_b32_e32 v5, vcc_lo, v5
	; wave barrier
	ds_read_b32 v45, v46 offset:16
	v_and_b32_e32 v29, v47, v28
	v_and_b32_e32 v28, v48, v5
	v_mbcnt_lo_u32_b32 v5, v28, 0
	v_mbcnt_hi_u32_b32 v47, v29, v5
	v_cmp_eq_u32_e32 vcc, 0, v47
	v_cmp_ne_u64_e64 s[0:1], 0, v[28:29]
	s_and_b64 s[2:3], s[0:1], vcc
	; wave barrier
	s_and_saveexec_b64 s[0:1], s[2:3]
	s_cbranch_execz .LBB25_140
; %bb.139:
	v_bcnt_u32_b32 v5, v28, 0
	v_bcnt_u32_b32 v5, v29, v5
	s_waitcnt lgkmcnt(0)
	v_add_u32_e32 v5, v45, v5
	ds_write_b32 v46, v5 offset:16
.LBB25_140:
	s_or_b64 exec, exec, s[0:1]
	s_waitcnt vmcnt(6)
	v_xor_b32_e32 v19, 0x80000000, v19
	v_lshrrev_b64 v[28:29], s68, v[18:19]
	v_and_b32_e32 v28, s9, v28
	v_lshl_add_u32 v5, v28, 2, v28
	v_add_lshl_u32 v49, v39, v5, 2
	v_and_b32_e32 v5, 1, v28
	v_add_co_u32_e32 v29, vcc, -1, v5
	v_addc_co_u32_e64 v50, s[0:1], 0, -1, vcc
	v_cmp_ne_u32_e32 vcc, 0, v5
	v_xor_b32_e32 v5, vcc_hi, v50
	v_and_b32_e32 v50, exec_hi, v5
	v_lshlrev_b32_e32 v5, 30, v28
	v_xor_b32_e32 v29, vcc_lo, v29
	v_cmp_gt_i64_e32 vcc, 0, v[4:5]
	v_not_b32_e32 v5, v5
	v_ashrrev_i32_e32 v5, 31, v5
	v_and_b32_e32 v29, exec_lo, v29
	v_xor_b32_e32 v51, vcc_hi, v5
	v_xor_b32_e32 v5, vcc_lo, v5
	v_and_b32_e32 v29, v29, v5
	v_lshlrev_b32_e32 v5, 29, v28
	v_cmp_gt_i64_e32 vcc, 0, v[4:5]
	v_not_b32_e32 v5, v5
	v_ashrrev_i32_e32 v5, 31, v5
	v_and_b32_e32 v50, v50, v51
	v_xor_b32_e32 v51, vcc_hi, v5
	v_xor_b32_e32 v5, vcc_lo, v5
	v_and_b32_e32 v29, v29, v5
	v_lshlrev_b32_e32 v5, 28, v28
	v_cmp_gt_i64_e32 vcc, 0, v[4:5]
	v_not_b32_e32 v5, v5
	v_ashrrev_i32_e32 v5, 31, v5
	v_and_b32_e32 v50, v50, v51
	;; [unrolled: 8-line block ×5, first 2 shown]
	v_xor_b32_e32 v51, vcc_hi, v5
	v_xor_b32_e32 v5, vcc_lo, v5
	v_and_b32_e32 v29, v29, v5
	v_lshlrev_b32_e32 v5, 24, v28
	v_cmp_gt_i64_e32 vcc, 0, v[4:5]
	v_not_b32_e32 v4, v5
	v_ashrrev_i32_e32 v4, 31, v4
	v_xor_b32_e32 v5, vcc_hi, v4
	v_xor_b32_e32 v4, vcc_lo, v4
	; wave barrier
	ds_read_b32 v48, v49 offset:16
	v_and_b32_e32 v50, v50, v51
	v_and_b32_e32 v4, v29, v4
	v_and_b32_e32 v5, v50, v5
	v_mbcnt_lo_u32_b32 v28, v4, 0
	v_mbcnt_hi_u32_b32 v50, v5, v28
	v_cmp_eq_u32_e32 vcc, 0, v50
	v_cmp_ne_u64_e64 s[0:1], 0, v[4:5]
	s_and_b64 s[2:3], s[0:1], vcc
	; wave barrier
	s_and_saveexec_b64 s[0:1], s[2:3]
	s_cbranch_execz .LBB25_142
; %bb.141:
	v_bcnt_u32_b32 v4, v4, 0
	v_bcnt_u32_b32 v4, v5, v4
	s_waitcnt lgkmcnt(0)
	v_add_u32_e32 v4, v48, v4
	ds_write_b32 v49, v4 offset:16
.LBB25_142:
	s_or_b64 exec, exec, s[0:1]
	s_waitcnt vmcnt(5)
	v_xor_b32_e32 v17, 0x80000000, v17
	v_lshrrev_b64 v[4:5], s68, v[16:17]
	v_and_b32_e32 v28, s9, v4
	v_and_b32_e32 v5, 1, v28
	v_add_co_u32_e32 v29, vcc, -1, v5
	v_addc_co_u32_e64 v53, s[0:1], 0, -1, vcc
	v_cmp_ne_u32_e32 vcc, 0, v5
	v_lshl_add_u32 v4, v28, 2, v28
	v_xor_b32_e32 v5, vcc_hi, v53
	v_add_lshl_u32 v52, v39, v4, 2
	v_mov_b32_e32 v4, 0
	v_and_b32_e32 v53, exec_hi, v5
	v_lshlrev_b32_e32 v5, 30, v28
	v_xor_b32_e32 v29, vcc_lo, v29
	v_cmp_gt_i64_e32 vcc, 0, v[4:5]
	v_not_b32_e32 v5, v5
	v_ashrrev_i32_e32 v5, 31, v5
	v_and_b32_e32 v29, exec_lo, v29
	v_xor_b32_e32 v54, vcc_hi, v5
	v_xor_b32_e32 v5, vcc_lo, v5
	v_and_b32_e32 v29, v29, v5
	v_lshlrev_b32_e32 v5, 29, v28
	v_cmp_gt_i64_e32 vcc, 0, v[4:5]
	v_not_b32_e32 v5, v5
	v_ashrrev_i32_e32 v5, 31, v5
	v_and_b32_e32 v53, v53, v54
	v_xor_b32_e32 v54, vcc_hi, v5
	v_xor_b32_e32 v5, vcc_lo, v5
	v_and_b32_e32 v29, v29, v5
	v_lshlrev_b32_e32 v5, 28, v28
	v_cmp_gt_i64_e32 vcc, 0, v[4:5]
	v_not_b32_e32 v5, v5
	v_ashrrev_i32_e32 v5, 31, v5
	v_and_b32_e32 v53, v53, v54
	v_xor_b32_e32 v54, vcc_hi, v5
	v_xor_b32_e32 v5, vcc_lo, v5
	v_and_b32_e32 v29, v29, v5
	v_lshlrev_b32_e32 v5, 27, v28
	v_cmp_gt_i64_e32 vcc, 0, v[4:5]
	v_not_b32_e32 v5, v5
	v_ashrrev_i32_e32 v5, 31, v5
	v_and_b32_e32 v53, v53, v54
	v_xor_b32_e32 v54, vcc_hi, v5
	v_xor_b32_e32 v5, vcc_lo, v5
	v_and_b32_e32 v29, v29, v5
	v_lshlrev_b32_e32 v5, 26, v28
	v_cmp_gt_i64_e32 vcc, 0, v[4:5]
	v_not_b32_e32 v5, v5
	v_ashrrev_i32_e32 v5, 31, v5
	v_and_b32_e32 v53, v53, v54
	v_xor_b32_e32 v54, vcc_hi, v5
	v_xor_b32_e32 v5, vcc_lo, v5
	v_and_b32_e32 v29, v29, v5
	v_lshlrev_b32_e32 v5, 25, v28
	v_cmp_gt_i64_e32 vcc, 0, v[4:5]
	v_not_b32_e32 v5, v5
	v_ashrrev_i32_e32 v5, 31, v5
	v_and_b32_e32 v53, v53, v54
	v_xor_b32_e32 v54, vcc_hi, v5
	v_xor_b32_e32 v5, vcc_lo, v5
	v_and_b32_e32 v53, v53, v54
	v_and_b32_e32 v54, v29, v5
	v_lshlrev_b32_e32 v5, 24, v28
	v_cmp_gt_i64_e32 vcc, 0, v[4:5]
	v_not_b32_e32 v5, v5
	v_ashrrev_i32_e32 v5, 31, v5
	v_xor_b32_e32 v28, vcc_hi, v5
	v_xor_b32_e32 v5, vcc_lo, v5
	; wave barrier
	ds_read_b32 v51, v52 offset:16
	v_and_b32_e32 v29, v53, v28
	v_and_b32_e32 v28, v54, v5
	v_mbcnt_lo_u32_b32 v5, v28, 0
	v_mbcnt_hi_u32_b32 v53, v29, v5
	v_cmp_eq_u32_e32 vcc, 0, v53
	v_cmp_ne_u64_e64 s[0:1], 0, v[28:29]
	s_and_b64 s[2:3], s[0:1], vcc
	; wave barrier
	s_and_saveexec_b64 s[0:1], s[2:3]
	s_cbranch_execz .LBB25_144
; %bb.143:
	v_bcnt_u32_b32 v5, v28, 0
	v_bcnt_u32_b32 v5, v29, v5
	s_waitcnt lgkmcnt(0)
	v_add_u32_e32 v5, v51, v5
	ds_write_b32 v52, v5 offset:16
.LBB25_144:
	s_or_b64 exec, exec, s[0:1]
	s_waitcnt vmcnt(4)
	v_xor_b32_e32 v13, 0x80000000, v13
	v_lshrrev_b64 v[28:29], s68, v[12:13]
	v_and_b32_e32 v28, s9, v28
	v_lshl_add_u32 v5, v28, 2, v28
	v_add_lshl_u32 v55, v39, v5, 2
	v_and_b32_e32 v5, 1, v28
	v_add_co_u32_e32 v29, vcc, -1, v5
	v_addc_co_u32_e64 v56, s[0:1], 0, -1, vcc
	v_cmp_ne_u32_e32 vcc, 0, v5
	v_xor_b32_e32 v5, vcc_hi, v56
	v_and_b32_e32 v56, exec_hi, v5
	v_lshlrev_b32_e32 v5, 30, v28
	v_xor_b32_e32 v29, vcc_lo, v29
	v_cmp_gt_i64_e32 vcc, 0, v[4:5]
	v_not_b32_e32 v5, v5
	v_ashrrev_i32_e32 v5, 31, v5
	v_and_b32_e32 v29, exec_lo, v29
	v_xor_b32_e32 v57, vcc_hi, v5
	v_xor_b32_e32 v5, vcc_lo, v5
	v_and_b32_e32 v29, v29, v5
	v_lshlrev_b32_e32 v5, 29, v28
	v_cmp_gt_i64_e32 vcc, 0, v[4:5]
	v_not_b32_e32 v5, v5
	v_ashrrev_i32_e32 v5, 31, v5
	v_and_b32_e32 v56, v56, v57
	v_xor_b32_e32 v57, vcc_hi, v5
	v_xor_b32_e32 v5, vcc_lo, v5
	v_and_b32_e32 v29, v29, v5
	v_lshlrev_b32_e32 v5, 28, v28
	v_cmp_gt_i64_e32 vcc, 0, v[4:5]
	v_not_b32_e32 v5, v5
	v_ashrrev_i32_e32 v5, 31, v5
	v_and_b32_e32 v56, v56, v57
	;; [unrolled: 8-line block ×5, first 2 shown]
	v_xor_b32_e32 v57, vcc_hi, v5
	v_xor_b32_e32 v5, vcc_lo, v5
	v_and_b32_e32 v29, v29, v5
	v_lshlrev_b32_e32 v5, 24, v28
	v_cmp_gt_i64_e32 vcc, 0, v[4:5]
	v_not_b32_e32 v4, v5
	v_ashrrev_i32_e32 v4, 31, v4
	v_xor_b32_e32 v5, vcc_hi, v4
	v_xor_b32_e32 v4, vcc_lo, v4
	; wave barrier
	ds_read_b32 v54, v55 offset:16
	v_and_b32_e32 v56, v56, v57
	v_and_b32_e32 v4, v29, v4
	;; [unrolled: 1-line block ×3, first 2 shown]
	v_mbcnt_lo_u32_b32 v28, v4, 0
	v_mbcnt_hi_u32_b32 v56, v5, v28
	v_cmp_eq_u32_e32 vcc, 0, v56
	v_cmp_ne_u64_e64 s[0:1], 0, v[4:5]
	s_and_b64 s[2:3], s[0:1], vcc
	; wave barrier
	s_and_saveexec_b64 s[0:1], s[2:3]
	s_cbranch_execz .LBB25_146
; %bb.145:
	v_bcnt_u32_b32 v4, v4, 0
	v_bcnt_u32_b32 v4, v5, v4
	s_waitcnt lgkmcnt(0)
	v_add_u32_e32 v4, v54, v4
	ds_write_b32 v55, v4 offset:16
.LBB25_146:
	s_or_b64 exec, exec, s[0:1]
	s_waitcnt vmcnt(3)
	v_xor_b32_e32 v15, 0x80000000, v15
	v_lshrrev_b64 v[4:5], s68, v[14:15]
	v_and_b32_e32 v28, s9, v4
	v_and_b32_e32 v5, 1, v28
	v_add_co_u32_e32 v29, vcc, -1, v5
	v_addc_co_u32_e64 v59, s[0:1], 0, -1, vcc
	v_cmp_ne_u32_e32 vcc, 0, v5
	v_lshl_add_u32 v4, v28, 2, v28
	v_xor_b32_e32 v5, vcc_hi, v59
	v_add_lshl_u32 v58, v39, v4, 2
	v_mov_b32_e32 v4, 0
	v_and_b32_e32 v59, exec_hi, v5
	v_lshlrev_b32_e32 v5, 30, v28
	v_xor_b32_e32 v29, vcc_lo, v29
	v_cmp_gt_i64_e32 vcc, 0, v[4:5]
	v_not_b32_e32 v5, v5
	v_ashrrev_i32_e32 v5, 31, v5
	v_and_b32_e32 v29, exec_lo, v29
	v_xor_b32_e32 v60, vcc_hi, v5
	v_xor_b32_e32 v5, vcc_lo, v5
	v_and_b32_e32 v29, v29, v5
	v_lshlrev_b32_e32 v5, 29, v28
	v_cmp_gt_i64_e32 vcc, 0, v[4:5]
	v_not_b32_e32 v5, v5
	v_ashrrev_i32_e32 v5, 31, v5
	v_and_b32_e32 v59, v59, v60
	v_xor_b32_e32 v60, vcc_hi, v5
	v_xor_b32_e32 v5, vcc_lo, v5
	v_and_b32_e32 v29, v29, v5
	v_lshlrev_b32_e32 v5, 28, v28
	v_cmp_gt_i64_e32 vcc, 0, v[4:5]
	v_not_b32_e32 v5, v5
	v_ashrrev_i32_e32 v5, 31, v5
	v_and_b32_e32 v59, v59, v60
	;; [unrolled: 8-line block ×5, first 2 shown]
	v_xor_b32_e32 v60, vcc_hi, v5
	v_xor_b32_e32 v5, vcc_lo, v5
	v_and_b32_e32 v59, v59, v60
	v_and_b32_e32 v60, v29, v5
	v_lshlrev_b32_e32 v5, 24, v28
	v_cmp_gt_i64_e32 vcc, 0, v[4:5]
	v_not_b32_e32 v5, v5
	v_ashrrev_i32_e32 v5, 31, v5
	v_xor_b32_e32 v28, vcc_hi, v5
	v_xor_b32_e32 v5, vcc_lo, v5
	; wave barrier
	ds_read_b32 v57, v58 offset:16
	v_and_b32_e32 v29, v59, v28
	v_and_b32_e32 v28, v60, v5
	v_mbcnt_lo_u32_b32 v5, v28, 0
	v_mbcnt_hi_u32_b32 v59, v29, v5
	v_cmp_eq_u32_e32 vcc, 0, v59
	v_cmp_ne_u64_e64 s[0:1], 0, v[28:29]
	s_and_b64 s[2:3], s[0:1], vcc
	; wave barrier
	s_and_saveexec_b64 s[0:1], s[2:3]
	s_cbranch_execz .LBB25_148
; %bb.147:
	v_bcnt_u32_b32 v5, v28, 0
	v_bcnt_u32_b32 v5, v29, v5
	s_waitcnt lgkmcnt(0)
	v_add_u32_e32 v5, v57, v5
	ds_write_b32 v58, v5 offset:16
.LBB25_148:
	s_or_b64 exec, exec, s[0:1]
	s_waitcnt vmcnt(2)
	v_xor_b32_e32 v11, 0x80000000, v11
	v_lshrrev_b64 v[28:29], s68, v[10:11]
	v_and_b32_e32 v28, s9, v28
	v_lshl_add_u32 v5, v28, 2, v28
	v_add_lshl_u32 v61, v39, v5, 2
	v_and_b32_e32 v5, 1, v28
	v_add_co_u32_e32 v29, vcc, -1, v5
	v_addc_co_u32_e64 v62, s[0:1], 0, -1, vcc
	v_cmp_ne_u32_e32 vcc, 0, v5
	v_xor_b32_e32 v5, vcc_hi, v62
	v_and_b32_e32 v62, exec_hi, v5
	v_lshlrev_b32_e32 v5, 30, v28
	v_xor_b32_e32 v29, vcc_lo, v29
	v_cmp_gt_i64_e32 vcc, 0, v[4:5]
	v_not_b32_e32 v5, v5
	v_ashrrev_i32_e32 v5, 31, v5
	v_and_b32_e32 v29, exec_lo, v29
	v_xor_b32_e32 v63, vcc_hi, v5
	v_xor_b32_e32 v5, vcc_lo, v5
	v_and_b32_e32 v29, v29, v5
	v_lshlrev_b32_e32 v5, 29, v28
	v_cmp_gt_i64_e32 vcc, 0, v[4:5]
	v_not_b32_e32 v5, v5
	v_ashrrev_i32_e32 v5, 31, v5
	v_and_b32_e32 v62, v62, v63
	v_xor_b32_e32 v63, vcc_hi, v5
	v_xor_b32_e32 v5, vcc_lo, v5
	v_and_b32_e32 v29, v29, v5
	v_lshlrev_b32_e32 v5, 28, v28
	v_cmp_gt_i64_e32 vcc, 0, v[4:5]
	v_not_b32_e32 v5, v5
	v_ashrrev_i32_e32 v5, 31, v5
	v_and_b32_e32 v62, v62, v63
	;; [unrolled: 8-line block ×5, first 2 shown]
	v_xor_b32_e32 v63, vcc_hi, v5
	v_xor_b32_e32 v5, vcc_lo, v5
	v_and_b32_e32 v29, v29, v5
	v_lshlrev_b32_e32 v5, 24, v28
	v_cmp_gt_i64_e32 vcc, 0, v[4:5]
	v_not_b32_e32 v4, v5
	v_ashrrev_i32_e32 v4, 31, v4
	v_xor_b32_e32 v5, vcc_hi, v4
	v_xor_b32_e32 v4, vcc_lo, v4
	; wave barrier
	ds_read_b32 v60, v61 offset:16
	v_and_b32_e32 v62, v62, v63
	v_and_b32_e32 v4, v29, v4
	;; [unrolled: 1-line block ×3, first 2 shown]
	v_mbcnt_lo_u32_b32 v28, v4, 0
	v_mbcnt_hi_u32_b32 v62, v5, v28
	v_cmp_eq_u32_e32 vcc, 0, v62
	v_cmp_ne_u64_e64 s[0:1], 0, v[4:5]
	s_and_b64 s[2:3], s[0:1], vcc
	; wave barrier
	s_and_saveexec_b64 s[0:1], s[2:3]
	s_cbranch_execz .LBB25_150
; %bb.149:
	v_bcnt_u32_b32 v4, v4, 0
	v_bcnt_u32_b32 v4, v5, v4
	s_waitcnt lgkmcnt(0)
	v_add_u32_e32 v4, v60, v4
	ds_write_b32 v61, v4 offset:16
.LBB25_150:
	s_or_b64 exec, exec, s[0:1]
	s_waitcnt vmcnt(1)
	v_xor_b32_e32 v9, 0x80000000, v9
	v_lshrrev_b64 v[4:5], s68, v[8:9]
	v_and_b32_e32 v28, s9, v4
	v_and_b32_e32 v5, 1, v28
	v_add_co_u32_e32 v29, vcc, -1, v5
	v_addc_co_u32_e64 v65, s[0:1], 0, -1, vcc
	v_cmp_ne_u32_e32 vcc, 0, v5
	v_lshl_add_u32 v4, v28, 2, v28
	v_xor_b32_e32 v5, vcc_hi, v65
	v_add_lshl_u32 v64, v39, v4, 2
	v_mov_b32_e32 v4, 0
	v_and_b32_e32 v65, exec_hi, v5
	v_lshlrev_b32_e32 v5, 30, v28
	v_xor_b32_e32 v29, vcc_lo, v29
	v_cmp_gt_i64_e32 vcc, 0, v[4:5]
	v_not_b32_e32 v5, v5
	v_ashrrev_i32_e32 v5, 31, v5
	v_and_b32_e32 v29, exec_lo, v29
	v_xor_b32_e32 v66, vcc_hi, v5
	v_xor_b32_e32 v5, vcc_lo, v5
	v_and_b32_e32 v29, v29, v5
	v_lshlrev_b32_e32 v5, 29, v28
	v_cmp_gt_i64_e32 vcc, 0, v[4:5]
	v_not_b32_e32 v5, v5
	v_ashrrev_i32_e32 v5, 31, v5
	v_and_b32_e32 v65, v65, v66
	v_xor_b32_e32 v66, vcc_hi, v5
	v_xor_b32_e32 v5, vcc_lo, v5
	v_and_b32_e32 v29, v29, v5
	v_lshlrev_b32_e32 v5, 28, v28
	v_cmp_gt_i64_e32 vcc, 0, v[4:5]
	v_not_b32_e32 v5, v5
	v_ashrrev_i32_e32 v5, 31, v5
	v_and_b32_e32 v65, v65, v66
	;; [unrolled: 8-line block ×5, first 2 shown]
	v_xor_b32_e32 v66, vcc_hi, v5
	v_xor_b32_e32 v5, vcc_lo, v5
	v_and_b32_e32 v65, v65, v66
	v_and_b32_e32 v66, v29, v5
	v_lshlrev_b32_e32 v5, 24, v28
	v_cmp_gt_i64_e32 vcc, 0, v[4:5]
	v_not_b32_e32 v5, v5
	v_ashrrev_i32_e32 v5, 31, v5
	v_xor_b32_e32 v28, vcc_hi, v5
	v_xor_b32_e32 v5, vcc_lo, v5
	; wave barrier
	ds_read_b32 v63, v64 offset:16
	v_and_b32_e32 v29, v65, v28
	v_and_b32_e32 v28, v66, v5
	v_mbcnt_lo_u32_b32 v5, v28, 0
	v_mbcnt_hi_u32_b32 v65, v29, v5
	v_cmp_eq_u32_e32 vcc, 0, v65
	v_cmp_ne_u64_e64 s[0:1], 0, v[28:29]
	s_and_b64 s[2:3], s[0:1], vcc
	; wave barrier
	s_and_saveexec_b64 s[0:1], s[2:3]
	s_cbranch_execz .LBB25_152
; %bb.151:
	v_bcnt_u32_b32 v5, v28, 0
	v_bcnt_u32_b32 v5, v29, v5
	s_waitcnt lgkmcnt(0)
	v_add_u32_e32 v5, v63, v5
	ds_write_b32 v64, v5 offset:16
.LBB25_152:
	s_or_b64 exec, exec, s[0:1]
	s_waitcnt vmcnt(0)
	v_xor_b32_e32 v1, 0x80000000, v1
	v_lshrrev_b64 v[28:29], s68, v[0:1]
	v_and_b32_e32 v28, s9, v28
	v_lshl_add_u32 v5, v28, 2, v28
	v_add_lshl_u32 v39, v39, v5, 2
	v_and_b32_e32 v5, 1, v28
	v_add_co_u32_e32 v29, vcc, -1, v5
	v_addc_co_u32_e64 v68, s[0:1], 0, -1, vcc
	v_cmp_ne_u32_e32 vcc, 0, v5
	v_xor_b32_e32 v5, vcc_hi, v68
	v_and_b32_e32 v68, exec_hi, v5
	v_lshlrev_b32_e32 v5, 30, v28
	v_xor_b32_e32 v29, vcc_lo, v29
	v_cmp_gt_i64_e32 vcc, 0, v[4:5]
	v_not_b32_e32 v5, v5
	v_ashrrev_i32_e32 v5, 31, v5
	v_and_b32_e32 v29, exec_lo, v29
	v_xor_b32_e32 v69, vcc_hi, v5
	v_xor_b32_e32 v5, vcc_lo, v5
	v_and_b32_e32 v29, v29, v5
	v_lshlrev_b32_e32 v5, 29, v28
	v_cmp_gt_i64_e32 vcc, 0, v[4:5]
	v_not_b32_e32 v5, v5
	v_ashrrev_i32_e32 v5, 31, v5
	v_and_b32_e32 v68, v68, v69
	v_xor_b32_e32 v69, vcc_hi, v5
	v_xor_b32_e32 v5, vcc_lo, v5
	v_and_b32_e32 v29, v29, v5
	v_lshlrev_b32_e32 v5, 28, v28
	v_cmp_gt_i64_e32 vcc, 0, v[4:5]
	v_not_b32_e32 v5, v5
	v_ashrrev_i32_e32 v5, 31, v5
	v_and_b32_e32 v68, v68, v69
	v_xor_b32_e32 v69, vcc_hi, v5
	v_xor_b32_e32 v5, vcc_lo, v5
	v_and_b32_e32 v29, v29, v5
	v_lshlrev_b32_e32 v5, 27, v28
	v_cmp_gt_i64_e32 vcc, 0, v[4:5]
	v_not_b32_e32 v5, v5
	v_ashrrev_i32_e32 v5, 31, v5
	v_and_b32_e32 v68, v68, v69
	v_xor_b32_e32 v69, vcc_hi, v5
	v_xor_b32_e32 v5, vcc_lo, v5
	v_and_b32_e32 v29, v29, v5
	v_lshlrev_b32_e32 v5, 26, v28
	v_cmp_gt_i64_e32 vcc, 0, v[4:5]
	v_not_b32_e32 v5, v5
	v_ashrrev_i32_e32 v5, 31, v5
	v_and_b32_e32 v68, v68, v69
	v_xor_b32_e32 v69, vcc_hi, v5
	v_xor_b32_e32 v5, vcc_lo, v5
	v_and_b32_e32 v29, v29, v5
	v_lshlrev_b32_e32 v5, 25, v28
	v_cmp_gt_i64_e32 vcc, 0, v[4:5]
	v_not_b32_e32 v5, v5
	v_ashrrev_i32_e32 v5, 31, v5
	v_and_b32_e32 v68, v68, v69
	v_xor_b32_e32 v69, vcc_hi, v5
	v_xor_b32_e32 v5, vcc_lo, v5
	v_and_b32_e32 v29, v29, v5
	v_lshlrev_b32_e32 v5, 24, v28
	v_cmp_gt_i64_e32 vcc, 0, v[4:5]
	v_not_b32_e32 v4, v5
	v_ashrrev_i32_e32 v4, 31, v4
	v_xor_b32_e32 v5, vcc_hi, v4
	v_xor_b32_e32 v4, vcc_lo, v4
	; wave barrier
	ds_read_b32 v66, v39 offset:16
	v_and_b32_e32 v68, v68, v69
	v_and_b32_e32 v4, v29, v4
	;; [unrolled: 1-line block ×3, first 2 shown]
	v_mbcnt_lo_u32_b32 v28, v4, 0
	v_mbcnt_hi_u32_b32 v68, v5, v28
	v_cmp_eq_u32_e32 vcc, 0, v68
	v_cmp_ne_u64_e64 s[0:1], 0, v[4:5]
	v_add_u32_e32 v67, 16, v31
	s_and_b64 s[2:3], s[0:1], vcc
	; wave barrier
	s_and_saveexec_b64 s[0:1], s[2:3]
	s_cbranch_execz .LBB25_154
; %bb.153:
	v_bcnt_u32_b32 v4, v4, 0
	v_bcnt_u32_b32 v4, v5, v4
	s_waitcnt lgkmcnt(0)
	v_add_u32_e32 v4, v66, v4
	ds_write_b32 v39, v4 offset:16
.LBB25_154:
	s_or_b64 exec, exec, s[0:1]
	; wave barrier
	s_waitcnt lgkmcnt(0)
	s_barrier
	ds_read2_b32 v[28:29], v31 offset0:4 offset1:5
	ds_read2_b32 v[4:5], v67 offset0:2 offset1:3
	ds_read_b32 v69, v67 offset:16
	v_min_u32_e32 v32, 0xc0, v32
	v_or_b32_e32 v32, 63, v32
	s_waitcnt lgkmcnt(1)
	v_add3_u32 v70, v29, v28, v4
	s_waitcnt lgkmcnt(0)
	v_add3_u32 v69, v70, v5, v69
	v_and_b32_e32 v70, 15, v3
	v_cmp_ne_u32_e32 vcc, 0, v70
	v_mov_b32_dpp v71, v69 row_shr:1 row_mask:0xf bank_mask:0xf
	v_cndmask_b32_e32 v71, 0, v71, vcc
	v_add_u32_e32 v69, v71, v69
	v_cmp_lt_u32_e32 vcc, 1, v70
	s_nop 0
	v_mov_b32_dpp v71, v69 row_shr:2 row_mask:0xf bank_mask:0xf
	v_cndmask_b32_e32 v71, 0, v71, vcc
	v_add_u32_e32 v69, v69, v71
	v_cmp_lt_u32_e32 vcc, 3, v70
	s_nop 0
	;; [unrolled: 5-line block ×3, first 2 shown]
	v_mov_b32_dpp v71, v69 row_shr:8 row_mask:0xf bank_mask:0xf
	v_cndmask_b32_e32 v70, 0, v71, vcc
	v_add_u32_e32 v69, v69, v70
	v_bfe_i32 v71, v3, 4, 1
	v_cmp_lt_u32_e32 vcc, 31, v3
	v_mov_b32_dpp v70, v69 row_bcast:15 row_mask:0xf bank_mask:0xf
	v_and_b32_e32 v70, v71, v70
	v_add_u32_e32 v69, v69, v70
	s_nop 1
	v_mov_b32_dpp v70, v69 row_bcast:31 row_mask:0xf bank_mask:0xf
	v_cndmask_b32_e32 v70, 0, v70, vcc
	v_add_u32_e32 v69, v69, v70
	v_lshrrev_b32_e32 v70, 6, v2
	v_cmp_eq_u32_e32 vcc, v32, v2
	s_and_saveexec_b64 s[0:1], vcc
	s_cbranch_execz .LBB25_156
; %bb.155:
	v_lshlrev_b32_e32 v32, 2, v70
	ds_write_b32 v32, v69
.LBB25_156:
	s_or_b64 exec, exec, s[0:1]
	v_cmp_gt_u32_e32 vcc, 4, v2
	s_waitcnt lgkmcnt(0)
	s_barrier
	s_and_saveexec_b64 s[0:1], vcc
	s_cbranch_execz .LBB25_158
; %bb.157:
	v_lshlrev_b32_e32 v32, 2, v2
	ds_read_b32 v71, v32
	v_and_b32_e32 v72, 3, v3
	v_cmp_ne_u32_e32 vcc, 0, v72
	s_waitcnt lgkmcnt(0)
	v_mov_b32_dpp v73, v71 row_shr:1 row_mask:0xf bank_mask:0xf
	v_cndmask_b32_e32 v73, 0, v73, vcc
	v_add_u32_e32 v71, v73, v71
	v_cmp_lt_u32_e32 vcc, 1, v72
	s_nop 0
	v_mov_b32_dpp v73, v71 row_shr:2 row_mask:0xf bank_mask:0xf
	v_cndmask_b32_e32 v72, 0, v73, vcc
	v_add_u32_e32 v71, v71, v72
	ds_write_b32 v32, v71
.LBB25_158:
	s_or_b64 exec, exec, s[0:1]
	v_cmp_lt_u32_e32 vcc, 63, v2
	v_mov_b32_e32 v32, 0
	s_waitcnt lgkmcnt(0)
	s_barrier
	s_and_saveexec_b64 s[0:1], vcc
	s_cbranch_execz .LBB25_160
; %bb.159:
	v_lshl_add_u32 v32, v70, 2, -4
	ds_read_b32 v32, v32
.LBB25_160:
	s_or_b64 exec, exec, s[0:1]
	v_add_u32_e32 v70, -1, v3
	v_and_b32_e32 v71, 64, v3
	v_cmp_lt_i32_e32 vcc, v70, v71
	v_cndmask_b32_e32 v70, v70, v3, vcc
	s_waitcnt lgkmcnt(0)
	v_add_u32_e32 v69, v32, v69
	v_lshlrev_b32_e32 v70, 2, v70
	ds_bpermute_b32 v69, v70, v69
	v_cmp_eq_u32_e32 vcc, 0, v3
	s_movk_i32 s0, 0x100
	s_waitcnt lgkmcnt(0)
	v_cndmask_b32_e32 v32, v69, v32, vcc
	v_cmp_ne_u32_e32 vcc, 0, v2
	v_cndmask_b32_e32 v32, 0, v32, vcc
	v_add_u32_e32 v28, v32, v28
	v_add_u32_e32 v29, v28, v29
	;; [unrolled: 1-line block ×4, first 2 shown]
	ds_write2_b32 v31, v32, v28 offset0:4 offset1:5
	ds_write2_b32 v67, v29, v4 offset0:2 offset1:3
	ds_write_b32 v67, v5 offset:16
	s_waitcnt lgkmcnt(0)
	s_barrier
	ds_read_b32 v29, v36 offset:16
	ds_read_b32 v32, v40 offset:16
	;; [unrolled: 1-line block ×13, first 2 shown]
	v_add_u32_e32 v31, 1, v2
	v_cmp_ne_u32_e32 vcc, s0, v31
	v_mov_b32_e32 v5, 0xc00
	s_and_saveexec_b64 s[0:1], vcc
	s_cbranch_execz .LBB25_162
; %bb.161:
	v_mul_u32_u24_e32 v5, 5, v31
	v_lshlrev_b32_e32 v5, 2, v5
	ds_read_b32 v5, v5 offset:16
.LBB25_162:
	s_or_b64 exec, exec, s[0:1]
	s_waitcnt lgkmcnt(1)
	v_add_u32_e32 v28, v28, v34
	v_add3_u32 v29, v37, v35, v29
	v_add3_u32 v31, v41, v38, v32
	v_lshlrev_b32_e32 v41, 3, v28
	s_waitcnt lgkmcnt(0)
	s_barrier
	ds_write_b64 v41, v[6:7] offset:2048
	v_lshlrev_b32_e32 v6, 3, v29
	v_add3_u32 v32, v44, v42, v36
	ds_write_b64 v6, v[26:27] offset:2048
	v_lshlrev_b32_e32 v6, 3, v31
	v_add3_u32 v33, v47, v45, v40
	;; [unrolled: 3-line block ×9, first 2 shown]
	ds_write_b64 v6, v[10:11] offset:2048
	v_lshlrev_b32_e32 v6, 3, v39
	ds_write_b64 v6, v[8:9] offset:2048
	v_lshlrev_b32_e32 v6, 3, v40
	ds_write_b64 v6, v[0:1] offset:2048
	v_lshl_add_u32 v0, s6, 8, v2
	v_mov_b32_e32 v1, 0
	v_lshlrev_b64 v[6:7], 2, v[0:1]
	v_sub_u32_e32 v12, v5, v4
	v_mov_b32_e32 v10, s73
	v_add_co_u32_e32 v6, vcc, s72, v6
	v_addc_co_u32_e32 v7, vcc, v10, v7, vcc
	v_or_b32_e32 v0, 2.0, v12
	s_mov_b64 s[0:1], 0
	s_brev_b32 s10, 1
	v_mov_b32_e32 v5, 0
	s_waitcnt lgkmcnt(0)
	s_barrier
	global_store_dword v[6:7], v0, off
                                        ; implicit-def: $sgpr2_sgpr3
	s_branch .LBB25_165
.LBB25_163:                             ;   in Loop: Header=BB25_165 Depth=1
	s_or_b64 exec, exec, s[4:5]
.LBB25_164:                             ;   in Loop: Header=BB25_165 Depth=1
	s_or_b64 exec, exec, s[2:3]
	v_and_b32_e32 v8, 0x3fffffff, v11
	v_add_u32_e32 v5, v8, v5
	v_cmp_eq_u32_e64 s[2:3], s10, v0
	s_and_b64 s[4:5], exec, s[2:3]
	s_or_b64 s[0:1], s[4:5], s[0:1]
	s_andn2_b64 exec, exec, s[0:1]
	s_cbranch_execz .LBB25_170
.LBB25_165:                             ; =>This Loop Header: Depth=1
                                        ;     Child Loop BB25_168 Depth 2
	s_or_b64 s[2:3], s[2:3], exec
	s_cmp_eq_u32 s7, 0
	s_cbranch_scc1 .LBB25_169
; %bb.166:                              ;   in Loop: Header=BB25_165 Depth=1
	s_add_i32 s7, s7, -1
	v_lshl_add_u32 v0, s7, 8, v2
	v_lshlrev_b64 v[8:9], 2, v[0:1]
	v_add_co_u32_e32 v8, vcc, s72, v8
	v_addc_co_u32_e32 v9, vcc, v10, v9, vcc
	global_load_dword v11, v[8:9], off glc
	s_waitcnt vmcnt(0)
	v_and_b32_e32 v0, -2.0, v11
	v_cmp_eq_u32_e32 vcc, 0, v0
	s_and_saveexec_b64 s[2:3], vcc
	s_cbranch_execz .LBB25_164
; %bb.167:                              ;   in Loop: Header=BB25_165 Depth=1
	s_mov_b64 s[4:5], 0
.LBB25_168:                             ;   Parent Loop BB25_165 Depth=1
                                        ; =>  This Inner Loop Header: Depth=2
	global_load_dword v11, v[8:9], off glc
	s_waitcnt vmcnt(0)
	v_and_b32_e32 v0, -2.0, v11
	v_cmp_ne_u32_e32 vcc, 0, v0
	s_or_b64 s[4:5], vcc, s[4:5]
	s_andn2_b64 exec, exec, s[4:5]
	s_cbranch_execnz .LBB25_168
	s_branch .LBB25_163
.LBB25_169:                             ;   in Loop: Header=BB25_165 Depth=1
                                        ; implicit-def: $sgpr7
	s_and_b64 s[4:5], exec, s[2:3]
	s_or_b64 s[0:1], s[4:5], s[0:1]
	s_andn2_b64 exec, exec, s[0:1]
	s_cbranch_execnz .LBB25_165
.LBB25_170:
	s_or_b64 exec, exec, s[0:1]
	v_add_u32_e32 v0, v5, v12
	v_or_b32_e32 v0, 0x80000000, v0
	global_store_dword v[6:7], v0, off
	v_lshlrev_b32_e32 v8, 3, v2
	global_load_dwordx2 v[0:1], v8, s[64:65]
	v_sub_co_u32_e32 v5, vcc, v5, v4
	v_subb_co_u32_e64 v6, s[0:1], 0, 0, vcc
	v_mov_b32_e32 v9, s59
	v_mov_b32_e32 v13, s59
	;; [unrolled: 1-line block ×4, first 2 shown]
	v_add_u32_e32 v55, 0x1000, v8
	s_add_u32 s0, s60, s54
	s_addc_u32 s1, s61, 0
	s_add_i32 s8, s8, -1
	s_cmp_eq_u32 s6, s8
	s_waitcnt vmcnt(0)
	v_add_co_u32_e32 v0, vcc, v5, v0
	v_addc_co_u32_e32 v1, vcc, v6, v1, vcc
	ds_write_b64 v8, v[0:1]
	s_waitcnt lgkmcnt(0)
	s_barrier
	ds_read2st64_b64 v[14:17], v8 offset0:4 offset1:8
	ds_read2st64_b64 v[18:21], v8 offset0:12 offset1:16
	;; [unrolled: 1-line block ×4, first 2 shown]
	v_add_u32_e32 v5, 0x1800, v8
	s_waitcnt lgkmcnt(2)
	v_lshrrev_b64 v[10:11], s68, v[18:19]
	v_lshrrev_b64 v[0:1], s68, v[14:15]
	;; [unrolled: 1-line block ×4, first 2 shown]
	s_waitcnt lgkmcnt(1)
	v_lshrrev_b64 v[46:47], s68, v[22:23]
	v_lshrrev_b64 v[48:49], s68, v[24:25]
	s_waitcnt lgkmcnt(0)
	v_lshrrev_b64 v[50:51], s68, v[42:43]
	v_and_b32_e32 v0, s9, v0
	v_lshrrev_b64 v[52:53], s68, v[44:45]
	v_and_b32_e32 v1, s9, v6
	v_and_b32_e32 v6, s9, v10
	;; [unrolled: 1-line block ×6, first 2 shown]
	v_lshlrev_b32_e32 v47, 3, v0
	v_and_b32_e32 v46, s9, v52
	v_lshlrev_b32_e32 v48, 3, v1
	v_lshlrev_b32_e32 v49, 3, v6
	;; [unrolled: 1-line block ×6, first 2 shown]
	ds_read_b64 v[0:1], v47
	ds_read_b64 v[6:7], v48
	;; [unrolled: 1-line block ×4, first 2 shown]
	v_xor_b32_e32 v15, 0x80000000, v15
	s_waitcnt lgkmcnt(3)
	v_lshlrev_b64 v[0:1], 3, v[0:1]
	v_add_co_u32_e32 v0, vcc, s58, v0
	s_waitcnt lgkmcnt(2)
	v_lshlrev_b64 v[6:7], 3, v[6:7]
	v_addc_co_u32_e32 v1, vcc, v9, v1, vcc
	v_add_co_u32_e32 v6, vcc, s58, v6
	s_waitcnt lgkmcnt(1)
	v_lshlrev_b64 v[10:11], 3, v[10:11]
	v_addc_co_u32_e32 v7, vcc, v13, v7, vcc
	;; [unrolled: 4-line block ×3, first 2 shown]
	v_add_co_u32_e32 v13, vcc, s58, v26
	v_addc_co_u32_e32 v27, vcc, v54, v27, vcc
	v_add_co_u32_e32 v0, vcc, v0, v8
	v_addc_co_u32_e32 v1, vcc, 0, v1, vcc
	;; [unrolled: 2-line block ×3, first 2 shown]
	v_add_co_u32_e32 v10, vcc, v9, v55
	v_xor_b32_e32 v17, 0x80000000, v17
	v_xor_b32_e32 v19, 0x80000000, v19
	v_addc_co_u32_e32 v11, vcc, 0, v11, vcc
	global_store_dwordx2 v[0:1], v[14:15], off
	global_store_dwordx2 v[6:7], v[16:17], off offset:2048
	global_store_dwordx2 v[10:11], v[18:19], off
	ds_read_b64 v[0:1], v51
	v_add_co_u32_e32 v26, vcc, v13, v5
	v_xor_b32_e32 v21, 0x80000000, v21
	v_addc_co_u32_e32 v27, vcc, 0, v27, vcc
	s_waitcnt lgkmcnt(0)
	v_lshlrev_b64 v[0:1], 3, v[0:1]
	global_store_dwordx2 v[26:27], v[20:21], off
	v_mov_b32_e32 v5, s59
	v_add_co_u32_e32 v0, vcc, s58, v0
	v_lshlrev_b32_e32 v46, 3, v46
	ds_read_b64 v[6:7], v52
	ds_read_b64 v[10:11], v53
	;; [unrolled: 1-line block ×3, first 2 shown]
	v_addc_co_u32_e32 v1, vcc, v5, v1, vcc
	v_or_b32_e32 v5, 0x2000, v8
	v_add_co_u32_e32 v0, vcc, v0, v5
	v_xor_b32_e32 v23, 0x80000000, v23
	v_addc_co_u32_e32 v1, vcc, 0, v1, vcc
	global_store_dwordx2 v[0:1], v[22:23], off
	s_waitcnt lgkmcnt(2)
	v_lshlrev_b64 v[0:1], 3, v[6:7]
	v_mov_b32_e32 v5, s59
	v_add_co_u32_e32 v0, vcc, s58, v0
	v_addc_co_u32_e32 v1, vcc, v5, v1, vcc
	v_add_u32_e32 v5, 0x2800, v8
	v_add_co_u32_e32 v0, vcc, v0, v5
	v_xor_b32_e32 v25, 0x80000000, v25
	v_addc_co_u32_e32 v1, vcc, 0, v1, vcc
	global_store_dwordx2 v[0:1], v[24:25], off
	s_waitcnt lgkmcnt(1)
	v_lshlrev_b64 v[0:1], 3, v[10:11]
	v_mov_b32_e32 v5, s59
	v_add_co_u32_e32 v0, vcc, s58, v0
	v_addc_co_u32_e32 v1, vcc, v5, v1, vcc
	v_add_u32_e32 v5, 0x3000, v8
	v_add_co_u32_e32 v0, vcc, v0, v5
	v_xor_b32_e32 v43, 0x80000000, v43
	v_addc_co_u32_e32 v1, vcc, 0, v1, vcc
	global_store_dwordx2 v[0:1], v[42:43], off
	s_waitcnt lgkmcnt(0)
	v_lshlrev_b64 v[0:1], 3, v[14:15]
	ds_read2st64_b64 v[14:17], v8 offset0:36 offset1:40
	v_mov_b32_e32 v5, s59
	v_add_co_u32_e32 v0, vcc, s58, v0
	v_addc_co_u32_e32 v1, vcc, v5, v1, vcc
	v_add_u32_e32 v5, 0x3800, v8
	v_add_co_u32_e32 v0, vcc, v0, v5
	v_xor_b32_e32 v45, 0x80000000, v45
	v_addc_co_u32_e32 v1, vcc, 0, v1, vcc
	ds_read2st64_b64 v[18:21], v8 offset0:44 offset1:48
	global_store_dwordx2 v[0:1], v[44:45], off
	s_waitcnt lgkmcnt(1)
	v_lshrrev_b64 v[0:1], s68, v[14:15]
	v_and_b32_e32 v0, s9, v0
	v_lshlrev_b32_e32 v9, 3, v0
	v_lshrrev_b64 v[0:1], s68, v[16:17]
	v_and_b32_e32 v0, s9, v0
	v_lshlrev_b32_e32 v13, 3, v0
	s_waitcnt lgkmcnt(0)
	v_lshrrev_b64 v[0:1], s68, v[18:19]
	v_and_b32_e32 v0, s9, v0
	v_lshlrev_b32_e32 v24, 3, v0
	v_lshrrev_b64 v[0:1], s68, v[20:21]
	v_and_b32_e32 v5, s9, v0
	ds_read_b64 v[0:1], v9
	v_lshlrev_b32_e32 v25, 3, v5
	v_mov_b32_e32 v5, s59
	ds_read_b64 v[6:7], v13
	ds_read_b64 v[10:11], v24
	;; [unrolled: 1-line block ×3, first 2 shown]
	v_xor_b32_e32 v15, 0x80000000, v15
	s_waitcnt lgkmcnt(3)
	v_lshlrev_b64 v[0:1], 3, v[0:1]
	v_add_co_u32_e32 v0, vcc, s58, v0
	v_addc_co_u32_e32 v1, vcc, v5, v1, vcc
	v_or_b32_e32 v5, 0x4000, v8
	v_add_co_u32_e32 v0, vcc, v0, v5
	v_addc_co_u32_e32 v1, vcc, 0, v1, vcc
	global_store_dwordx2 v[0:1], v[14:15], off
	s_waitcnt lgkmcnt(2)
	v_lshlrev_b64 v[0:1], 3, v[6:7]
	v_mov_b32_e32 v5, s59
	v_add_co_u32_e32 v0, vcc, s58, v0
	v_addc_co_u32_e32 v1, vcc, v5, v1, vcc
	v_add_u32_e32 v5, 0x4800, v8
	v_add_co_u32_e32 v0, vcc, v0, v5
	v_xor_b32_e32 v17, 0x80000000, v17
	v_addc_co_u32_e32 v1, vcc, 0, v1, vcc
	global_store_dwordx2 v[0:1], v[16:17], off
	s_waitcnt lgkmcnt(1)
	v_lshlrev_b64 v[0:1], 3, v[10:11]
	v_mov_b32_e32 v5, s59
	v_add_co_u32_e32 v0, vcc, s58, v0
	v_addc_co_u32_e32 v1, vcc, v5, v1, vcc
	v_add_u32_e32 v5, 0x5000, v8
	v_add_co_u32_e32 v0, vcc, v0, v5
	v_xor_b32_e32 v19, 0x80000000, v19
	;; [unrolled: 10-line block ×3, first 2 shown]
	v_addc_co_u32_e32 v1, vcc, 0, v1, vcc
	global_store_dwordx2 v[0:1], v[20:21], off
	v_mov_b32_e32 v0, s1
	v_add_co_u32_e32 v1, vcc, s0, v3
	v_addc_co_u32_e32 v3, vcc, 0, v0, vcc
	v_add_co_u32_e32 v0, vcc, v1, v30
	v_addc_co_u32_e32 v1, vcc, 0, v3, vcc
	global_load_ubyte v6, v[0:1], off
	global_load_ubyte v7, v[0:1], off offset:64
	global_load_ubyte v10, v[0:1], off offset:128
	;; [unrolled: 1-line block ×11, first 2 shown]
	s_barrier
	s_waitcnt vmcnt(11)
	ds_write_b8 v28, v6 offset:2048
	s_waitcnt vmcnt(10)
	ds_write_b8 v29, v7 offset:2048
	;; [unrolled: 2-line block ×12, first 2 shown]
	s_waitcnt lgkmcnt(0)
	s_barrier
	ds_read_b64 v[0:1], v47
	ds_read_b64 v[6:7], v48
	;; [unrolled: 1-line block ×4, first 2 shown]
	v_mov_b32_e32 v16, s63
	s_waitcnt lgkmcnt(3)
	v_add_co_u32_e32 v0, vcc, s62, v0
	v_addc_co_u32_e32 v1, vcc, v16, v1, vcc
	v_add_co_u32_e32 v0, vcc, v0, v2
	v_addc_co_u32_e32 v1, vcc, 0, v1, vcc
	ds_read_u8 v16, v2 offset:2048
	ds_read_u8 v17, v2 offset:2304
	ds_read_u8 v18, v2 offset:2560
	ds_read_u8 v19, v2 offset:2816
	ds_read_u8 v20, v2 offset:3072
	ds_read_u8 v21, v2 offset:3328
	ds_read_u8 v22, v2 offset:3584
	ds_read_u8 v23, v2 offset:3840
	s_waitcnt lgkmcnt(7)
	global_store_byte v[0:1], v16, off
	v_mov_b32_e32 v0, s63
	v_add_co_u32_e32 v1, vcc, s62, v6
	v_addc_co_u32_e32 v6, vcc, v0, v7, vcc
	v_add_co_u32_e32 v0, vcc, v1, v2
	v_addc_co_u32_e32 v1, vcc, 0, v6, vcc
	s_waitcnt lgkmcnt(6)
	global_store_byte v[0:1], v17, off offset:256
	v_mov_b32_e32 v0, s63
	v_add_co_u32_e32 v1, vcc, s62, v10
	v_addc_co_u32_e32 v6, vcc, v0, v11, vcc
	v_add_co_u32_e32 v0, vcc, v1, v2
	v_addc_co_u32_e32 v1, vcc, 0, v6, vcc
	s_waitcnt lgkmcnt(5)
	global_store_byte v[0:1], v18, off offset:512
	;; [unrolled: 7-line block ×3, first 2 shown]
	ds_read_b64 v[0:1], v51
	ds_read_b64 v[6:7], v52
	;; [unrolled: 1-line block ×4, first 2 shown]
	v_mov_b32_e32 v16, s63
	s_waitcnt lgkmcnt(3)
	v_add_co_u32_e32 v0, vcc, s62, v0
	v_addc_co_u32_e32 v1, vcc, v16, v1, vcc
	v_add_co_u32_e32 v0, vcc, v0, v2
	v_addc_co_u32_e32 v1, vcc, 0, v1, vcc
	global_store_byte v[0:1], v20, off offset:1024
	v_mov_b32_e32 v0, s63
	s_waitcnt lgkmcnt(2)
	v_add_co_u32_e32 v1, vcc, s62, v6
	v_addc_co_u32_e32 v6, vcc, v0, v7, vcc
	v_add_co_u32_e32 v0, vcc, v1, v2
	v_addc_co_u32_e32 v1, vcc, 0, v6, vcc
	global_store_byte v[0:1], v21, off offset:1280
	;; [unrolled: 7-line block ×4, first 2 shown]
	ds_read_u8 v16, v2 offset:4096
	ds_read_b64 v[0:1], v9
	ds_read_b64 v[6:7], v13
	ds_read_b64 v[10:11], v24
	ds_read_b64 v[14:15], v25
	v_mov_b32_e32 v17, s63
	s_waitcnt lgkmcnt(3)
	v_add_co_u32_e32 v0, vcc, s62, v0
	v_addc_co_u32_e32 v1, vcc, v17, v1, vcc
	v_add_co_u32_e32 v0, vcc, v0, v2
	v_addc_co_u32_e32 v1, vcc, 0, v1, vcc
	ds_read_u8 v9, v2 offset:4352
	ds_read_u8 v13, v2 offset:4608
	;; [unrolled: 1-line block ×3, first 2 shown]
	global_store_byte v[0:1], v16, off offset:2048
	v_mov_b32_e32 v0, s63
	s_waitcnt lgkmcnt(5)
	v_add_co_u32_e32 v1, vcc, s62, v6
	v_addc_co_u32_e32 v6, vcc, v0, v7, vcc
	v_add_co_u32_e32 v0, vcc, v1, v2
	v_addc_co_u32_e32 v1, vcc, 0, v6, vcc
	s_waitcnt lgkmcnt(2)
	global_store_byte v[0:1], v9, off offset:2304
	v_mov_b32_e32 v0, s63
	v_add_co_u32_e32 v1, vcc, s62, v10
	v_addc_co_u32_e32 v6, vcc, v0, v11, vcc
	v_add_co_u32_e32 v0, vcc, v1, v2
	v_addc_co_u32_e32 v1, vcc, 0, v6, vcc
	s_waitcnt lgkmcnt(1)
	global_store_byte v[0:1], v13, off offset:2560
	v_mov_b32_e32 v0, s63
	v_add_co_u32_e32 v1, vcc, s62, v14
	v_addc_co_u32_e32 v6, vcc, v0, v15, vcc
	v_mov_b32_e32 v3, 0
	v_add_co_u32_e32 v0, vcc, v1, v2
	v_mov_b32_e32 v5, v3
	v_addc_co_u32_e32 v1, vcc, 0, v6, vcc
	s_cselect_b64 s[0:1], -1, 0
	s_waitcnt lgkmcnt(0)
	global_store_byte v[0:1], v17, off offset:2816
.LBB25_171:
	s_and_b64 vcc, exec, s[0:1]
	s_cbranch_vccnz .LBB25_173
; %bb.172:
	s_endpgm
.LBB25_173:
	v_lshlrev_b64 v[0:1], 3, v[2:3]
	ds_read_b64 v[2:3], v8
	v_add_co_u32_e32 v4, vcc, v4, v12
	v_addc_co_u32_e32 v5, vcc, 0, v5, vcc
	v_mov_b32_e32 v6, s67
	v_add_co_u32_e32 v0, vcc, s66, v0
	v_addc_co_u32_e32 v1, vcc, v6, v1, vcc
	s_waitcnt lgkmcnt(0)
	v_add_co_u32_e32 v2, vcc, v4, v2
	v_addc_co_u32_e32 v3, vcc, v5, v3, vcc
	global_store_dwordx2 v[0:1], v[2:3], off
	s_endpgm
.LBB25_174:
	global_load_ubyte v9, v[6:7], off
	s_or_b64 exec, exec, s[0:1]
                                        ; implicit-def: $vgpr10
	s_and_saveexec_b64 s[0:1], s[2:3]
	s_cbranch_execz .LBB25_91
.LBB25_175:
	global_load_ubyte v10, v[6:7], off offset:64
	s_or_b64 exec, exec, s[0:1]
                                        ; implicit-def: $vgpr11
	s_and_saveexec_b64 s[0:1], s[50:51]
	s_cbranch_execz .LBB25_92
.LBB25_176:
	global_load_ubyte v11, v[6:7], off offset:128
	s_or_b64 exec, exec, s[0:1]
                                        ; implicit-def: $vgpr13
	s_and_saveexec_b64 s[0:1], s[8:9]
	s_cbranch_execz .LBB25_93
.LBB25_177:
	global_load_ubyte v13, v[6:7], off offset:192
	s_or_b64 exec, exec, s[0:1]
                                        ; implicit-def: $vgpr14
	s_and_saveexec_b64 s[0:1], s[10:11]
	s_cbranch_execz .LBB25_94
.LBB25_178:
	global_load_ubyte v14, v[6:7], off offset:256
	s_or_b64 exec, exec, s[0:1]
                                        ; implicit-def: $vgpr15
	s_and_saveexec_b64 s[0:1], s[12:13]
	s_cbranch_execz .LBB25_95
.LBB25_179:
	global_load_ubyte v15, v[6:7], off offset:320
	s_or_b64 exec, exec, s[0:1]
                                        ; implicit-def: $vgpr16
	s_and_saveexec_b64 s[0:1], s[14:15]
	s_cbranch_execz .LBB25_96
.LBB25_180:
	global_load_ubyte v16, v[6:7], off offset:384
	s_or_b64 exec, exec, s[0:1]
                                        ; implicit-def: $vgpr19
	s_and_saveexec_b64 s[0:1], s[16:17]
	s_cbranch_execz .LBB25_97
.LBB25_181:
	global_load_ubyte v19, v[6:7], off offset:448
	s_or_b64 exec, exec, s[0:1]
                                        ; implicit-def: $vgpr21
	s_and_saveexec_b64 s[0:1], s[18:19]
	s_cbranch_execz .LBB25_98
.LBB25_182:
	global_load_ubyte v21, v[6:7], off offset:512
	s_or_b64 exec, exec, s[0:1]
                                        ; implicit-def: $vgpr24
	s_and_saveexec_b64 s[0:1], s[20:21]
	s_cbranch_execz .LBB25_99
.LBB25_183:
	global_load_ubyte v24, v[6:7], off offset:576
	s_or_b64 exec, exec, s[0:1]
                                        ; implicit-def: $vgpr27
	s_and_saveexec_b64 s[0:1], s[22:23]
	s_cbranch_execz .LBB25_100
.LBB25_184:
	global_load_ubyte v27, v[6:7], off offset:640
	s_or_b64 exec, exec, s[0:1]
                                        ; implicit-def: $vgpr32
	s_and_saveexec_b64 s[0:1], s[24:25]
	s_cbranch_execz .LBB25_101
.LBB25_185:
	global_load_ubyte v32, v[6:7], off offset:704
	s_or_b64 exec, exec, s[0:1]
                                        ; implicit-def: $vgpr33
	s_and_saveexec_b64 s[0:1], vcc
	s_cbranch_execz .LBB25_102
.LBB25_186:
	ds_read_b64 v[6:7], v8 offset:2048
	s_waitcnt lgkmcnt(0)
	v_lshrrev_b64 v[6:7], s68, v[6:7]
	v_and_b32_e32 v33, s55, v6
	s_or_b64 exec, exec, s[0:1]
                                        ; implicit-def: $vgpr29
	s_and_saveexec_b64 s[0:1], s[26:27]
	s_cbranch_execz .LBB25_103
.LBB25_187:
	v_lshlrev_b32_e32 v6, 3, v2
	ds_read_b64 v[6:7], v6 offset:4096
	s_waitcnt lgkmcnt(0)
	v_lshrrev_b64 v[6:7], s68, v[6:7]
	v_and_b32_e32 v29, s55, v6
	s_or_b64 exec, exec, s[0:1]
                                        ; implicit-def: $vgpr28
	s_and_saveexec_b64 s[0:1], s[28:29]
	s_cbranch_execz .LBB25_104
.LBB25_188:
	v_lshlrev_b32_e32 v6, 3, v2
	ds_read_b64 v[6:7], v6 offset:6144
	s_waitcnt lgkmcnt(0)
	v_lshrrev_b64 v[6:7], s68, v[6:7]
	v_and_b32_e32 v28, s55, v6
	s_or_b64 exec, exec, s[0:1]
                                        ; implicit-def: $vgpr26
	s_and_saveexec_b64 s[0:1], s[30:31]
	s_cbranch_execz .LBB25_105
.LBB25_189:
	v_lshlrev_b32_e32 v6, 3, v2
	ds_read_b64 v[6:7], v6 offset:8192
	s_waitcnt lgkmcnt(0)
	v_lshrrev_b64 v[6:7], s68, v[6:7]
	v_and_b32_e32 v26, s55, v6
	s_or_b64 exec, exec, s[0:1]
                                        ; implicit-def: $vgpr25
	s_and_saveexec_b64 s[0:1], s[34:35]
	s_cbranch_execz .LBB25_106
.LBB25_190:
	v_lshlrev_b32_e32 v6, 3, v2
	ds_read_b64 v[6:7], v6 offset:10240
	s_waitcnt lgkmcnt(0)
	v_lshrrev_b64 v[6:7], s68, v[6:7]
	v_and_b32_e32 v25, s55, v6
	s_or_b64 exec, exec, s[0:1]
                                        ; implicit-def: $vgpr23
	s_and_saveexec_b64 s[0:1], s[36:37]
	s_cbranch_execz .LBB25_107
.LBB25_191:
	v_lshlrev_b32_e32 v6, 3, v2
	ds_read_b64 v[6:7], v6 offset:12288
	s_waitcnt lgkmcnt(0)
	v_lshrrev_b64 v[6:7], s68, v[6:7]
	v_and_b32_e32 v23, s55, v6
	s_or_b64 exec, exec, s[0:1]
                                        ; implicit-def: $vgpr22
	s_and_saveexec_b64 s[0:1], s[38:39]
	s_cbranch_execz .LBB25_108
.LBB25_192:
	v_lshlrev_b32_e32 v6, 3, v2
	ds_read_b64 v[6:7], v6 offset:14336
	s_waitcnt lgkmcnt(0)
	v_lshrrev_b64 v[6:7], s68, v[6:7]
	v_and_b32_e32 v22, s55, v6
	s_or_b64 exec, exec, s[0:1]
                                        ; implicit-def: $vgpr20
	s_and_saveexec_b64 s[0:1], s[40:41]
	s_cbranch_execz .LBB25_109
.LBB25_193:
	v_lshlrev_b32_e32 v6, 3, v2
	ds_read_b64 v[6:7], v6 offset:16384
	s_waitcnt lgkmcnt(0)
	v_lshrrev_b64 v[6:7], s68, v[6:7]
	v_and_b32_e32 v20, s55, v6
	s_or_b64 exec, exec, s[0:1]
                                        ; implicit-def: $vgpr18
	s_and_saveexec_b64 s[0:1], s[42:43]
	s_cbranch_execnz .LBB25_110
	s_branch .LBB25_111
.LBB25_194:
	v_lshlrev_b32_e32 v7, 3, v2
	ds_read_b64 v[44:45], v7 offset:20480
	s_waitcnt lgkmcnt(0)
	v_lshrrev_b64 v[44:45], s68, v[44:45]
	v_and_b32_e32 v17, s55, v44
	s_or_b64 exec, exec, s[0:1]
	s_and_saveexec_b64 s[0:1], s[46:47]
	s_cbranch_execz .LBB25_113
.LBB25_195:
	v_lshlrev_b32_e32 v6, 3, v2
	ds_read_b64 v[6:7], v6 offset:22528
	s_waitcnt lgkmcnt(0)
	v_lshrrev_b64 v[6:7], s68, v[6:7]
	v_and_b32_e32 v6, s55, v6
	s_or_b64 exec, exec, s[0:1]
	v_mov_b32_e32 v7, 0
	s_and_saveexec_b64 s[0:1], s[48:49]
	s_cbranch_execnz .LBB25_114
	s_branch .LBB25_115
.LBB25_196:
	v_lshlrev_b32_e32 v9, 3, v33
	ds_read_b64 v[10:11], v9
	ds_read_u8 v9, v2 offset:2048
	v_mov_b32_e32 v13, s63
	s_waitcnt lgkmcnt(1)
	v_add_co_u32_e32 v10, vcc, s62, v10
	v_addc_co_u32_e32 v11, vcc, v13, v11, vcc
	v_add_co_u32_e32 v10, vcc, v10, v2
	v_addc_co_u32_e32 v11, vcc, 0, v11, vcc
	s_waitcnt lgkmcnt(0)
	global_store_byte v[10:11], v9, off
	s_or_b64 exec, exec, s[0:1]
	s_and_saveexec_b64 s[0:1], s[26:27]
	s_cbranch_execz .LBB25_117
.LBB25_197:
	v_lshlrev_b32_e32 v9, 3, v29
	ds_read_b64 v[10:11], v9
	ds_read_u8 v9, v2 offset:2304
	v_mov_b32_e32 v13, s63
	s_waitcnt lgkmcnt(1)
	v_add_co_u32_e32 v10, vcc, s62, v10
	v_addc_co_u32_e32 v11, vcc, v13, v11, vcc
	v_add_co_u32_e32 v10, vcc, v10, v2
	v_addc_co_u32_e32 v11, vcc, 0, v11, vcc
	s_waitcnt lgkmcnt(0)
	global_store_byte v[10:11], v9, off offset:256
	s_or_b64 exec, exec, s[0:1]
	s_and_saveexec_b64 s[0:1], s[28:29]
	s_cbranch_execz .LBB25_118
.LBB25_198:
	v_lshlrev_b32_e32 v9, 3, v28
	ds_read_b64 v[10:11], v9
	ds_read_u8 v9, v2 offset:2560
	v_mov_b32_e32 v13, s63
	s_waitcnt lgkmcnt(1)
	v_add_co_u32_e32 v10, vcc, s62, v10
	v_addc_co_u32_e32 v11, vcc, v13, v11, vcc
	v_add_co_u32_e32 v10, vcc, v10, v2
	v_addc_co_u32_e32 v11, vcc, 0, v11, vcc
	s_waitcnt lgkmcnt(0)
	global_store_byte v[10:11], v9, off offset:512
	s_or_b64 exec, exec, s[0:1]
	s_and_saveexec_b64 s[0:1], s[30:31]
	s_cbranch_execz .LBB25_119
.LBB25_199:
	v_lshlrev_b32_e32 v9, 3, v26
	ds_read_b64 v[10:11], v9
	ds_read_u8 v9, v2 offset:2816
	v_mov_b32_e32 v13, s63
	s_waitcnt lgkmcnt(1)
	v_add_co_u32_e32 v10, vcc, s62, v10
	v_addc_co_u32_e32 v11, vcc, v13, v11, vcc
	v_add_co_u32_e32 v10, vcc, v10, v2
	v_addc_co_u32_e32 v11, vcc, 0, v11, vcc
	s_waitcnt lgkmcnt(0)
	global_store_byte v[10:11], v9, off offset:768
	s_or_b64 exec, exec, s[0:1]
	s_and_saveexec_b64 s[0:1], s[34:35]
	s_cbranch_execz .LBB25_120
.LBB25_200:
	v_lshlrev_b32_e32 v9, 3, v25
	ds_read_b64 v[10:11], v9
	ds_read_u8 v9, v2 offset:3072
	v_mov_b32_e32 v13, s63
	s_waitcnt lgkmcnt(1)
	v_add_co_u32_e32 v10, vcc, s62, v10
	v_addc_co_u32_e32 v11, vcc, v13, v11, vcc
	v_add_co_u32_e32 v10, vcc, v10, v2
	v_addc_co_u32_e32 v11, vcc, 0, v11, vcc
	s_waitcnt lgkmcnt(0)
	global_store_byte v[10:11], v9, off offset:1024
	s_or_b64 exec, exec, s[0:1]
	s_and_saveexec_b64 s[0:1], s[36:37]
	s_cbranch_execz .LBB25_121
.LBB25_201:
	v_lshlrev_b32_e32 v9, 3, v23
	ds_read_b64 v[10:11], v9
	ds_read_u8 v9, v2 offset:3328
	v_mov_b32_e32 v13, s63
	s_waitcnt lgkmcnt(1)
	v_add_co_u32_e32 v10, vcc, s62, v10
	v_addc_co_u32_e32 v11, vcc, v13, v11, vcc
	v_add_co_u32_e32 v10, vcc, v10, v2
	v_addc_co_u32_e32 v11, vcc, 0, v11, vcc
	s_waitcnt lgkmcnt(0)
	global_store_byte v[10:11], v9, off offset:1280
	s_or_b64 exec, exec, s[0:1]
	s_and_saveexec_b64 s[0:1], s[38:39]
	s_cbranch_execz .LBB25_122
.LBB25_202:
	v_lshlrev_b32_e32 v9, 3, v22
	ds_read_b64 v[10:11], v9
	ds_read_u8 v9, v2 offset:3584
	v_mov_b32_e32 v13, s63
	s_waitcnt lgkmcnt(1)
	v_add_co_u32_e32 v10, vcc, s62, v10
	v_addc_co_u32_e32 v11, vcc, v13, v11, vcc
	v_add_co_u32_e32 v10, vcc, v10, v2
	v_addc_co_u32_e32 v11, vcc, 0, v11, vcc
	s_waitcnt lgkmcnt(0)
	global_store_byte v[10:11], v9, off offset:1536
	s_or_b64 exec, exec, s[0:1]
	s_and_saveexec_b64 s[0:1], s[40:41]
	s_cbranch_execz .LBB25_123
.LBB25_203:
	v_lshlrev_b32_e32 v9, 3, v20
	ds_read_b64 v[10:11], v9
	ds_read_u8 v9, v2 offset:3840
	v_mov_b32_e32 v13, s63
	s_waitcnt lgkmcnt(1)
	v_add_co_u32_e32 v10, vcc, s62, v10
	v_addc_co_u32_e32 v11, vcc, v13, v11, vcc
	v_add_co_u32_e32 v10, vcc, v10, v2
	v_addc_co_u32_e32 v11, vcc, 0, v11, vcc
	s_waitcnt lgkmcnt(0)
	global_store_byte v[10:11], v9, off offset:1792
	s_or_b64 exec, exec, s[0:1]
	s_and_saveexec_b64 s[0:1], s[42:43]
	s_cbranch_execz .LBB25_124
.LBB25_204:
	v_lshlrev_b32_e32 v9, 3, v18
	ds_read_b64 v[10:11], v9
	ds_read_u8 v9, v2 offset:4096
	v_mov_b32_e32 v13, s63
	s_waitcnt lgkmcnt(1)
	v_add_co_u32_e32 v10, vcc, s62, v10
	v_addc_co_u32_e32 v11, vcc, v13, v11, vcc
	v_add_co_u32_e32 v10, vcc, v10, v2
	v_addc_co_u32_e32 v11, vcc, 0, v11, vcc
	s_waitcnt lgkmcnt(0)
	global_store_byte v[10:11], v9, off offset:2048
	s_or_b64 exec, exec, s[0:1]
	s_and_saveexec_b64 s[0:1], s[44:45]
	s_cbranch_execz .LBB25_125
.LBB25_205:
	v_lshlrev_b32_e32 v9, 3, v17
	ds_read_b64 v[10:11], v9
	ds_read_u8 v9, v2 offset:4352
	v_mov_b32_e32 v13, s63
	s_waitcnt lgkmcnt(1)
	v_add_co_u32_e32 v10, vcc, s62, v10
	v_addc_co_u32_e32 v11, vcc, v13, v11, vcc
	v_add_co_u32_e32 v10, vcc, v10, v2
	v_addc_co_u32_e32 v11, vcc, 0, v11, vcc
	s_waitcnt lgkmcnt(0)
	global_store_byte v[10:11], v9, off offset:2304
	s_or_b64 exec, exec, s[0:1]
	s_and_saveexec_b64 s[0:1], s[46:47]
	s_cbranch_execz .LBB25_126
.LBB25_206:
	v_lshlrev_b32_e32 v6, 3, v6
	ds_read_b64 v[10:11], v6
	ds_read_u8 v6, v2 offset:4608
	v_mov_b32_e32 v9, s63
	s_waitcnt lgkmcnt(1)
	v_add_co_u32_e32 v10, vcc, s62, v10
	v_addc_co_u32_e32 v9, vcc, v9, v11, vcc
	v_add_co_u32_e32 v10, vcc, v10, v2
	v_addc_co_u32_e32 v11, vcc, 0, v9, vcc
	s_waitcnt lgkmcnt(0)
	global_store_byte v[10:11], v6, off offset:2560
	s_or_b64 exec, exec, s[0:1]
	s_and_saveexec_b64 s[0:1], s[48:49]
	s_cbranch_execnz .LBB25_127
	s_branch .LBB25_128
	.section	.rodata,"a",@progbits
	.p2align	6, 0x0
	.amdhsa_kernel _ZN7rocprim17ROCPRIM_304000_NS6detail25onesweep_iteration_kernelINS1_34wrapped_radix_sort_onesweep_configINS0_14default_configElN2at4cuda3cub6detail10OpaqueTypeILi1EEEEELb0EPlSC_PSA_SD_mNS0_19identity_decomposerEEEvT1_T2_T3_T4_jPT5_SK_PNS1_23onesweep_lookback_stateET6_jjj
		.amdhsa_group_segment_fixed_size 26624
		.amdhsa_private_segment_fixed_size 0
		.amdhsa_kernarg_size 336
		.amdhsa_user_sgpr_count 6
		.amdhsa_user_sgpr_private_segment_buffer 1
		.amdhsa_user_sgpr_dispatch_ptr 0
		.amdhsa_user_sgpr_queue_ptr 0
		.amdhsa_user_sgpr_kernarg_segment_ptr 1
		.amdhsa_user_sgpr_dispatch_id 0
		.amdhsa_user_sgpr_flat_scratch_init 0
		.amdhsa_user_sgpr_kernarg_preload_length 0
		.amdhsa_user_sgpr_kernarg_preload_offset 0
		.amdhsa_user_sgpr_private_segment_size 0
		.amdhsa_uses_dynamic_stack 0
		.amdhsa_system_sgpr_private_segment_wavefront_offset 0
		.amdhsa_system_sgpr_workgroup_id_x 1
		.amdhsa_system_sgpr_workgroup_id_y 0
		.amdhsa_system_sgpr_workgroup_id_z 0
		.amdhsa_system_sgpr_workgroup_info 0
		.amdhsa_system_vgpr_workitem_id 2
		.amdhsa_next_free_vgpr 76
		.amdhsa_next_free_sgpr 74
		.amdhsa_accum_offset 76
		.amdhsa_reserve_vcc 1
		.amdhsa_reserve_flat_scratch 0
		.amdhsa_float_round_mode_32 0
		.amdhsa_float_round_mode_16_64 0
		.amdhsa_float_denorm_mode_32 3
		.amdhsa_float_denorm_mode_16_64 3
		.amdhsa_dx10_clamp 1
		.amdhsa_ieee_mode 1
		.amdhsa_fp16_overflow 0
		.amdhsa_tg_split 0
		.amdhsa_exception_fp_ieee_invalid_op 0
		.amdhsa_exception_fp_denorm_src 0
		.amdhsa_exception_fp_ieee_div_zero 0
		.amdhsa_exception_fp_ieee_overflow 0
		.amdhsa_exception_fp_ieee_underflow 0
		.amdhsa_exception_fp_ieee_inexact 0
		.amdhsa_exception_int_div_zero 0
	.end_amdhsa_kernel
	.section	.text._ZN7rocprim17ROCPRIM_304000_NS6detail25onesweep_iteration_kernelINS1_34wrapped_radix_sort_onesweep_configINS0_14default_configElN2at4cuda3cub6detail10OpaqueTypeILi1EEEEELb0EPlSC_PSA_SD_mNS0_19identity_decomposerEEEvT1_T2_T3_T4_jPT5_SK_PNS1_23onesweep_lookback_stateET6_jjj,"axG",@progbits,_ZN7rocprim17ROCPRIM_304000_NS6detail25onesweep_iteration_kernelINS1_34wrapped_radix_sort_onesweep_configINS0_14default_configElN2at4cuda3cub6detail10OpaqueTypeILi1EEEEELb0EPlSC_PSA_SD_mNS0_19identity_decomposerEEEvT1_T2_T3_T4_jPT5_SK_PNS1_23onesweep_lookback_stateET6_jjj,comdat
.Lfunc_end25:
	.size	_ZN7rocprim17ROCPRIM_304000_NS6detail25onesweep_iteration_kernelINS1_34wrapped_radix_sort_onesweep_configINS0_14default_configElN2at4cuda3cub6detail10OpaqueTypeILi1EEEEELb0EPlSC_PSA_SD_mNS0_19identity_decomposerEEEvT1_T2_T3_T4_jPT5_SK_PNS1_23onesweep_lookback_stateET6_jjj, .Lfunc_end25-_ZN7rocprim17ROCPRIM_304000_NS6detail25onesweep_iteration_kernelINS1_34wrapped_radix_sort_onesweep_configINS0_14default_configElN2at4cuda3cub6detail10OpaqueTypeILi1EEEEELb0EPlSC_PSA_SD_mNS0_19identity_decomposerEEEvT1_T2_T3_T4_jPT5_SK_PNS1_23onesweep_lookback_stateET6_jjj
                                        ; -- End function
	.section	.AMDGPU.csdata,"",@progbits
; Kernel info:
; codeLenInByte = 18612
; NumSgprs: 78
; NumVgprs: 76
; NumAgprs: 0
; TotalNumVgprs: 76
; ScratchSize: 0
; MemoryBound: 0
; FloatMode: 240
; IeeeMode: 1
; LDSByteSize: 26624 bytes/workgroup (compile time only)
; SGPRBlocks: 9
; VGPRBlocks: 9
; NumSGPRsForWavesPerEU: 78
; NumVGPRsForWavesPerEU: 76
; AccumOffset: 76
; Occupancy: 2
; WaveLimiterHint : 1
; COMPUTE_PGM_RSRC2:SCRATCH_EN: 0
; COMPUTE_PGM_RSRC2:USER_SGPR: 6
; COMPUTE_PGM_RSRC2:TRAP_HANDLER: 0
; COMPUTE_PGM_RSRC2:TGID_X_EN: 1
; COMPUTE_PGM_RSRC2:TGID_Y_EN: 0
; COMPUTE_PGM_RSRC2:TGID_Z_EN: 0
; COMPUTE_PGM_RSRC2:TIDIG_COMP_CNT: 2
; COMPUTE_PGM_RSRC3_GFX90A:ACCUM_OFFSET: 18
; COMPUTE_PGM_RSRC3_GFX90A:TG_SPLIT: 0
	.text
	.p2alignl 6, 3212836864
	.fill 256, 4, 3212836864
	.type	__hip_cuid_76ca5b6f438e354e,@object ; @__hip_cuid_76ca5b6f438e354e
	.section	.bss,"aw",@nobits
	.globl	__hip_cuid_76ca5b6f438e354e
__hip_cuid_76ca5b6f438e354e:
	.byte	0                               ; 0x0
	.size	__hip_cuid_76ca5b6f438e354e, 1

	.ident	"AMD clang version 19.0.0git (https://github.com/RadeonOpenCompute/llvm-project roc-6.4.0 25133 c7fe45cf4b819c5991fe208aaa96edf142730f1d)"
	.section	".note.GNU-stack","",@progbits
	.addrsig
	.addrsig_sym __hip_cuid_76ca5b6f438e354e
	.amdgpu_metadata
---
amdhsa.kernels:
  - .agpr_count:     0
    .args:
      - .address_space:  global
        .offset:         0
        .size:           8
        .value_kind:     global_buffer
      - .address_space:  global
        .offset:         8
        .size:           8
        .value_kind:     global_buffer
      - .address_space:  global
        .offset:         16
        .size:           8
        .value_kind:     global_buffer
      - .address_space:  global
        .offset:         24
        .size:           8
        .value_kind:     global_buffer
      - .offset:         32
        .size:           4
        .value_kind:     by_value
      - .offset:         36
        .size:           1
        .value_kind:     by_value
      - .offset:         40
        .size:           4
        .value_kind:     by_value
      - .offset:         44
        .size:           4
        .value_kind:     by_value
      - .offset:         48
        .size:           4
        .value_kind:     hidden_block_count_x
      - .offset:         52
        .size:           4
        .value_kind:     hidden_block_count_y
      - .offset:         56
        .size:           4
        .value_kind:     hidden_block_count_z
      - .offset:         60
        .size:           2
        .value_kind:     hidden_group_size_x
      - .offset:         62
        .size:           2
        .value_kind:     hidden_group_size_y
      - .offset:         64
        .size:           2
        .value_kind:     hidden_group_size_z
      - .offset:         66
        .size:           2
        .value_kind:     hidden_remainder_x
      - .offset:         68
        .size:           2
        .value_kind:     hidden_remainder_y
      - .offset:         70
        .size:           2
        .value_kind:     hidden_remainder_z
      - .offset:         88
        .size:           8
        .value_kind:     hidden_global_offset_x
      - .offset:         96
        .size:           8
        .value_kind:     hidden_global_offset_y
      - .offset:         104
        .size:           8
        .value_kind:     hidden_global_offset_z
      - .offset:         112
        .size:           2
        .value_kind:     hidden_grid_dims
    .group_segment_fixed_size: 8192
    .kernarg_segment_align: 8
    .kernarg_segment_size: 304
    .language:       OpenCL C
    .language_version:
      - 2
      - 0
    .max_flat_workgroup_size: 256
    .name:           _ZN7rocprim17ROCPRIM_304000_NS6detail28radix_sort_block_sort_kernelINS1_36wrapped_radix_sort_block_sort_configINS0_13kernel_configILj256ELj4ELj4294967295EEElN2at4cuda3cub6detail10OpaqueTypeILi1EEEEELb1EPKlPlPKSB_PSB_NS0_19identity_decomposerEEEvT1_T2_T3_T4_jT5_jj
    .private_segment_fixed_size: 0
    .sgpr_count:     50
    .sgpr_spill_count: 0
    .symbol:         _ZN7rocprim17ROCPRIM_304000_NS6detail28radix_sort_block_sort_kernelINS1_36wrapped_radix_sort_block_sort_configINS0_13kernel_configILj256ELj4ELj4294967295EEElN2at4cuda3cub6detail10OpaqueTypeILi1EEEEELb1EPKlPlPKSB_PSB_NS0_19identity_decomposerEEEvT1_T2_T3_T4_jT5_jj.kd
    .uniform_work_group_size: 1
    .uses_dynamic_stack: false
    .vgpr_count:     52
    .vgpr_spill_count: 0
    .wavefront_size: 64
  - .agpr_count:     0
    .args:           []
    .group_segment_fixed_size: 0
    .kernarg_segment_align: 4
    .kernarg_segment_size: 0
    .language:       OpenCL C
    .language_version:
      - 2
      - 0
    .max_flat_workgroup_size: 1024
    .name:           _ZN7rocprim17ROCPRIM_304000_NS6detail39device_merge_sort_compile_time_verifierINS1_36wrapped_merge_sort_block_sort_configINS1_28merge_sort_block_sort_configILj256ELj4ELNS0_20block_sort_algorithmE0EEElN2at4cuda3cub6detail10OpaqueTypeILi1EEEEENS1_37wrapped_merge_sort_block_merge_configINS0_14default_configElSC_EEEEvv
    .private_segment_fixed_size: 0
    .sgpr_count:     4
    .sgpr_spill_count: 0
    .symbol:         _ZN7rocprim17ROCPRIM_304000_NS6detail39device_merge_sort_compile_time_verifierINS1_36wrapped_merge_sort_block_sort_configINS1_28merge_sort_block_sort_configILj256ELj4ELNS0_20block_sort_algorithmE0EEElN2at4cuda3cub6detail10OpaqueTypeILi1EEEEENS1_37wrapped_merge_sort_block_merge_configINS0_14default_configElSC_EEEEvv.kd
    .uniform_work_group_size: 1
    .uses_dynamic_stack: false
    .vgpr_count:     0
    .vgpr_spill_count: 0
    .wavefront_size: 64
  - .agpr_count:     0
    .args:
      - .address_space:  global
        .offset:         0
        .size:           8
        .value_kind:     global_buffer
      - .offset:         8
        .size:           4
        .value_kind:     by_value
      - .offset:         12
        .size:           4
        .value_kind:     by_value
      - .address_space:  global
        .offset:         16
        .size:           8
        .value_kind:     global_buffer
      - .offset:         24
        .size:           1
        .value_kind:     by_value
      - .offset:         28
        .size:           4
        .value_kind:     by_value
    .group_segment_fixed_size: 0
    .kernarg_segment_align: 8
    .kernarg_segment_size: 32
    .language:       OpenCL C
    .language_version:
      - 2
      - 0
    .max_flat_workgroup_size: 128
    .name:           _ZN7rocprim17ROCPRIM_304000_NS6detail45device_block_merge_mergepath_partition_kernelINS1_37wrapped_merge_sort_block_merge_configINS0_14default_configElN2at4cuda3cub6detail10OpaqueTypeILi1EEEEEPljNS1_19radix_merge_compareILb1ELb0ElNS0_19identity_decomposerEEEEEvT0_T1_jPSH_T2_SH_
    .private_segment_fixed_size: 0
    .sgpr_count:     11
    .sgpr_spill_count: 0
    .symbol:         _ZN7rocprim17ROCPRIM_304000_NS6detail45device_block_merge_mergepath_partition_kernelINS1_37wrapped_merge_sort_block_merge_configINS0_14default_configElN2at4cuda3cub6detail10OpaqueTypeILi1EEEEEPljNS1_19radix_merge_compareILb1ELb0ElNS0_19identity_decomposerEEEEEvT0_T1_jPSH_T2_SH_.kd
    .uniform_work_group_size: 1
    .uses_dynamic_stack: false
    .vgpr_count:     20
    .vgpr_spill_count: 0
    .wavefront_size: 64
  - .agpr_count:     0
    .args:
      - .address_space:  global
        .offset:         0
        .size:           8
        .value_kind:     global_buffer
      - .address_space:  global
        .offset:         8
        .size:           8
        .value_kind:     global_buffer
      - .address_space:  global
        .offset:         16
        .size:           8
        .value_kind:     global_buffer
      - .address_space:  global
        .offset:         24
        .size:           8
        .value_kind:     global_buffer
      - .offset:         32
        .size:           4
        .value_kind:     by_value
      - .offset:         36
        .size:           4
        .value_kind:     by_value
      - .offset:         40
        .size:           4
        .value_kind:     by_value
      - .offset:         44
        .size:           1
        .value_kind:     by_value
      - .address_space:  global
        .offset:         48
        .size:           8
        .value_kind:     global_buffer
      - .address_space:  global
        .offset:         56
        .size:           8
        .value_kind:     global_buffer
      - .offset:         64
        .size:           4
        .value_kind:     hidden_block_count_x
      - .offset:         68
        .size:           4
        .value_kind:     hidden_block_count_y
      - .offset:         72
        .size:           4
        .value_kind:     hidden_block_count_z
      - .offset:         76
        .size:           2
        .value_kind:     hidden_group_size_x
      - .offset:         78
        .size:           2
        .value_kind:     hidden_group_size_y
      - .offset:         80
        .size:           2
        .value_kind:     hidden_group_size_z
      - .offset:         82
        .size:           2
        .value_kind:     hidden_remainder_x
      - .offset:         84
        .size:           2
        .value_kind:     hidden_remainder_y
      - .offset:         86
        .size:           2
        .value_kind:     hidden_remainder_z
      - .offset:         104
        .size:           8
        .value_kind:     hidden_global_offset_x
      - .offset:         112
        .size:           8
        .value_kind:     hidden_global_offset_y
      - .offset:         120
        .size:           8
        .value_kind:     hidden_global_offset_z
      - .offset:         128
        .size:           2
        .value_kind:     hidden_grid_dims
    .group_segment_fixed_size: 8448
    .kernarg_segment_align: 8
    .kernarg_segment_size: 320
    .language:       OpenCL C
    .language_version:
      - 2
      - 0
    .max_flat_workgroup_size: 256
    .name:           _ZN7rocprim17ROCPRIM_304000_NS6detail35device_block_merge_mergepath_kernelINS1_37wrapped_merge_sort_block_merge_configINS0_14default_configElN2at4cuda3cub6detail10OpaqueTypeILi1EEEEEPlSC_PSA_SD_jNS1_19radix_merge_compareILb1ELb0ElNS0_19identity_decomposerEEEEEvT0_T1_T2_T3_T4_SL_jT5_PKSL_NS1_7vsmem_tE
    .private_segment_fixed_size: 0
    .sgpr_count:     35
    .sgpr_spill_count: 0
    .symbol:         _ZN7rocprim17ROCPRIM_304000_NS6detail35device_block_merge_mergepath_kernelINS1_37wrapped_merge_sort_block_merge_configINS0_14default_configElN2at4cuda3cub6detail10OpaqueTypeILi1EEEEEPlSC_PSA_SD_jNS1_19radix_merge_compareILb1ELb0ElNS0_19identity_decomposerEEEEEvT0_T1_T2_T3_T4_SL_jT5_PKSL_NS1_7vsmem_tE.kd
    .uniform_work_group_size: 1
    .uses_dynamic_stack: false
    .vgpr_count:     24
    .vgpr_spill_count: 0
    .wavefront_size: 64
  - .agpr_count:     0
    .args:
      - .address_space:  global
        .offset:         0
        .size:           8
        .value_kind:     global_buffer
      - .address_space:  global
        .offset:         8
        .size:           8
        .value_kind:     global_buffer
      - .address_space:  global
        .offset:         16
        .size:           8
        .value_kind:     global_buffer
      - .address_space:  global
        .offset:         24
        .size:           8
        .value_kind:     global_buffer
      - .offset:         32
        .size:           4
        .value_kind:     by_value
      - .offset:         36
        .size:           4
        .value_kind:     by_value
      - .offset:         40
        .size:           1
        .value_kind:     by_value
    .group_segment_fixed_size: 0
    .kernarg_segment_align: 8
    .kernarg_segment_size: 44
    .language:       OpenCL C
    .language_version:
      - 2
      - 0
    .max_flat_workgroup_size: 256
    .name:           _ZN7rocprim17ROCPRIM_304000_NS6detail33device_block_merge_oddeven_kernelINS1_37wrapped_merge_sort_block_merge_configINS0_14default_configElN2at4cuda3cub6detail10OpaqueTypeILi1EEEEEPlSC_PSA_SD_jNS1_19radix_merge_compareILb1ELb0ElNS0_19identity_decomposerEEEEEvT0_T1_T2_T3_T4_SL_T5_
    .private_segment_fixed_size: 0
    .sgpr_count:     27
    .sgpr_spill_count: 0
    .symbol:         _ZN7rocprim17ROCPRIM_304000_NS6detail33device_block_merge_oddeven_kernelINS1_37wrapped_merge_sort_block_merge_configINS0_14default_configElN2at4cuda3cub6detail10OpaqueTypeILi1EEEEEPlSC_PSA_SD_jNS1_19radix_merge_compareILb1ELb0ElNS0_19identity_decomposerEEEEEvT0_T1_T2_T3_T4_SL_T5_.kd
    .uniform_work_group_size: 1
    .uses_dynamic_stack: false
    .vgpr_count:     13
    .vgpr_spill_count: 0
    .wavefront_size: 64
  - .agpr_count:     0
    .args:
      - .address_space:  global
        .offset:         0
        .size:           8
        .value_kind:     global_buffer
      - .offset:         8
        .size:           8
        .value_kind:     by_value
      - .address_space:  global
        .offset:         16
        .size:           8
        .value_kind:     global_buffer
      - .offset:         24
        .size:           1
        .value_kind:     by_value
      - .offset:         32
        .size:           4
        .value_kind:     hidden_block_count_x
      - .offset:         36
        .size:           4
        .value_kind:     hidden_block_count_y
      - .offset:         40
        .size:           4
        .value_kind:     hidden_block_count_z
      - .offset:         44
        .size:           2
        .value_kind:     hidden_group_size_x
      - .offset:         46
        .size:           2
        .value_kind:     hidden_group_size_y
      - .offset:         48
        .size:           2
        .value_kind:     hidden_group_size_z
      - .offset:         50
        .size:           2
        .value_kind:     hidden_remainder_x
      - .offset:         52
        .size:           2
        .value_kind:     hidden_remainder_y
      - .offset:         54
        .size:           2
        .value_kind:     hidden_remainder_z
      - .offset:         72
        .size:           8
        .value_kind:     hidden_global_offset_x
      - .offset:         80
        .size:           8
        .value_kind:     hidden_global_offset_y
      - .offset:         88
        .size:           8
        .value_kind:     hidden_global_offset_z
      - .offset:         96
        .size:           2
        .value_kind:     hidden_grid_dims
    .group_segment_fixed_size: 0
    .kernarg_segment_align: 8
    .kernarg_segment_size: 288
    .language:       OpenCL C
    .language_version:
      - 2
      - 0
    .max_flat_workgroup_size: 256
    .name:           _ZN7rocprim17ROCPRIM_304000_NS6detail16transform_kernelINS1_24wrapped_transform_configINS0_14default_configElEElPlS6_NS0_8identityIlEEEEvT1_mT2_T3_
    .private_segment_fixed_size: 0
    .sgpr_count:     16
    .sgpr_spill_count: 0
    .symbol:         _ZN7rocprim17ROCPRIM_304000_NS6detail16transform_kernelINS1_24wrapped_transform_configINS0_14default_configElEElPlS6_NS0_8identityIlEEEEvT1_mT2_T3_.kd
    .uniform_work_group_size: 1
    .uses_dynamic_stack: false
    .vgpr_count:     8
    .vgpr_spill_count: 0
    .wavefront_size: 64
  - .agpr_count:     0
    .args:
      - .address_space:  global
        .offset:         0
        .size:           8
        .value_kind:     global_buffer
      - .offset:         8
        .size:           8
        .value_kind:     by_value
      - .address_space:  global
        .offset:         16
        .size:           8
        .value_kind:     global_buffer
      - .offset:         24
        .size:           1
        .value_kind:     by_value
      - .offset:         32
        .size:           4
        .value_kind:     hidden_block_count_x
      - .offset:         36
        .size:           4
        .value_kind:     hidden_block_count_y
      - .offset:         40
        .size:           4
        .value_kind:     hidden_block_count_z
      - .offset:         44
        .size:           2
        .value_kind:     hidden_group_size_x
      - .offset:         46
        .size:           2
        .value_kind:     hidden_group_size_y
      - .offset:         48
        .size:           2
        .value_kind:     hidden_group_size_z
      - .offset:         50
        .size:           2
        .value_kind:     hidden_remainder_x
      - .offset:         52
        .size:           2
        .value_kind:     hidden_remainder_y
      - .offset:         54
        .size:           2
        .value_kind:     hidden_remainder_z
      - .offset:         72
        .size:           8
        .value_kind:     hidden_global_offset_x
      - .offset:         80
        .size:           8
        .value_kind:     hidden_global_offset_y
      - .offset:         88
        .size:           8
        .value_kind:     hidden_global_offset_z
      - .offset:         96
        .size:           2
        .value_kind:     hidden_grid_dims
    .group_segment_fixed_size: 0
    .kernarg_segment_align: 8
    .kernarg_segment_size: 288
    .language:       OpenCL C
    .language_version:
      - 2
      - 0
    .max_flat_workgroup_size: 64
    .name:           _ZN7rocprim17ROCPRIM_304000_NS6detail16transform_kernelINS1_24wrapped_transform_configINS0_14default_configEN2at4cuda3cub6detail10OpaqueTypeILi1EEEEESA_PSA_SC_NS0_8identityISA_EEEEvT1_mT2_T3_
    .private_segment_fixed_size: 0
    .sgpr_count:     40
    .sgpr_spill_count: 0
    .symbol:         _ZN7rocprim17ROCPRIM_304000_NS6detail16transform_kernelINS1_24wrapped_transform_configINS0_14default_configEN2at4cuda3cub6detail10OpaqueTypeILi1EEEEESA_PSA_SC_NS0_8identityISA_EEEEvT1_mT2_T3_.kd
    .uniform_work_group_size: 1
    .uses_dynamic_stack: false
    .vgpr_count:     21
    .vgpr_spill_count: 0
    .wavefront_size: 64
  - .agpr_count:     0
    .args:
      - .address_space:  global
        .offset:         0
        .size:           8
        .value_kind:     global_buffer
      - .offset:         8
        .size:           4
        .value_kind:     by_value
      - .offset:         12
        .size:           4
        .value_kind:     by_value
      - .address_space:  global
        .offset:         16
        .size:           8
        .value_kind:     global_buffer
      - .offset:         24
        .size:           8
        .value_kind:     by_value
      - .offset:         32
        .size:           4
        .value_kind:     by_value
    .group_segment_fixed_size: 0
    .kernarg_segment_align: 8
    .kernarg_segment_size: 36
    .language:       OpenCL C
    .language_version:
      - 2
      - 0
    .max_flat_workgroup_size: 128
    .name:           _ZN7rocprim17ROCPRIM_304000_NS6detail45device_block_merge_mergepath_partition_kernelINS1_37wrapped_merge_sort_block_merge_configINS0_14default_configElN2at4cuda3cub6detail10OpaqueTypeILi1EEEEEPljNS1_19radix_merge_compareILb1ELb1ElNS0_19identity_decomposerEEEEEvT0_T1_jPSH_T2_SH_
    .private_segment_fixed_size: 0
    .sgpr_count:     14
    .sgpr_spill_count: 0
    .symbol:         _ZN7rocprim17ROCPRIM_304000_NS6detail45device_block_merge_mergepath_partition_kernelINS1_37wrapped_merge_sort_block_merge_configINS0_14default_configElN2at4cuda3cub6detail10OpaqueTypeILi1EEEEEPljNS1_19radix_merge_compareILb1ELb1ElNS0_19identity_decomposerEEEEEvT0_T1_jPSH_T2_SH_.kd
    .uniform_work_group_size: 1
    .uses_dynamic_stack: false
    .vgpr_count:     16
    .vgpr_spill_count: 0
    .wavefront_size: 64
  - .agpr_count:     0
    .args:
      - .address_space:  global
        .offset:         0
        .size:           8
        .value_kind:     global_buffer
      - .address_space:  global
        .offset:         8
        .size:           8
        .value_kind:     global_buffer
      - .address_space:  global
        .offset:         16
        .size:           8
        .value_kind:     global_buffer
      - .address_space:  global
        .offset:         24
        .size:           8
        .value_kind:     global_buffer
      - .offset:         32
        .size:           4
        .value_kind:     by_value
      - .offset:         36
        .size:           4
        .value_kind:     by_value
      - .offset:         40
        .size:           4
        .value_kind:     by_value
      - .offset:         48
        .size:           8
        .value_kind:     by_value
      - .address_space:  global
        .offset:         56
        .size:           8
        .value_kind:     global_buffer
      - .address_space:  global
        .offset:         64
        .size:           8
        .value_kind:     global_buffer
      - .offset:         72
        .size:           4
        .value_kind:     hidden_block_count_x
      - .offset:         76
        .size:           4
        .value_kind:     hidden_block_count_y
      - .offset:         80
        .size:           4
        .value_kind:     hidden_block_count_z
      - .offset:         84
        .size:           2
        .value_kind:     hidden_group_size_x
      - .offset:         86
        .size:           2
        .value_kind:     hidden_group_size_y
      - .offset:         88
        .size:           2
        .value_kind:     hidden_group_size_z
      - .offset:         90
        .size:           2
        .value_kind:     hidden_remainder_x
      - .offset:         92
        .size:           2
        .value_kind:     hidden_remainder_y
      - .offset:         94
        .size:           2
        .value_kind:     hidden_remainder_z
      - .offset:         112
        .size:           8
        .value_kind:     hidden_global_offset_x
      - .offset:         120
        .size:           8
        .value_kind:     hidden_global_offset_y
      - .offset:         128
        .size:           8
        .value_kind:     hidden_global_offset_z
      - .offset:         136
        .size:           2
        .value_kind:     hidden_grid_dims
    .group_segment_fixed_size: 8448
    .kernarg_segment_align: 8
    .kernarg_segment_size: 328
    .language:       OpenCL C
    .language_version:
      - 2
      - 0
    .max_flat_workgroup_size: 256
    .name:           _ZN7rocprim17ROCPRIM_304000_NS6detail35device_block_merge_mergepath_kernelINS1_37wrapped_merge_sort_block_merge_configINS0_14default_configElN2at4cuda3cub6detail10OpaqueTypeILi1EEEEEPlSC_PSA_SD_jNS1_19radix_merge_compareILb1ELb1ElNS0_19identity_decomposerEEEEEvT0_T1_T2_T3_T4_SL_jT5_PKSL_NS1_7vsmem_tE
    .private_segment_fixed_size: 0
    .sgpr_count:     36
    .sgpr_spill_count: 0
    .symbol:         _ZN7rocprim17ROCPRIM_304000_NS6detail35device_block_merge_mergepath_kernelINS1_37wrapped_merge_sort_block_merge_configINS0_14default_configElN2at4cuda3cub6detail10OpaqueTypeILi1EEEEEPlSC_PSA_SD_jNS1_19radix_merge_compareILb1ELb1ElNS0_19identity_decomposerEEEEEvT0_T1_T2_T3_T4_SL_jT5_PKSL_NS1_7vsmem_tE.kd
    .uniform_work_group_size: 1
    .uses_dynamic_stack: false
    .vgpr_count:     26
    .vgpr_spill_count: 0
    .wavefront_size: 64
  - .agpr_count:     0
    .args:
      - .address_space:  global
        .offset:         0
        .size:           8
        .value_kind:     global_buffer
      - .address_space:  global
        .offset:         8
        .size:           8
        .value_kind:     global_buffer
      - .address_space:  global
        .offset:         16
        .size:           8
        .value_kind:     global_buffer
      - .address_space:  global
        .offset:         24
        .size:           8
        .value_kind:     global_buffer
      - .offset:         32
        .size:           4
        .value_kind:     by_value
      - .offset:         36
        .size:           4
        .value_kind:     by_value
      - .offset:         40
        .size:           8
        .value_kind:     by_value
    .group_segment_fixed_size: 0
    .kernarg_segment_align: 8
    .kernarg_segment_size: 48
    .language:       OpenCL C
    .language_version:
      - 2
      - 0
    .max_flat_workgroup_size: 256
    .name:           _ZN7rocprim17ROCPRIM_304000_NS6detail33device_block_merge_oddeven_kernelINS1_37wrapped_merge_sort_block_merge_configINS0_14default_configElN2at4cuda3cub6detail10OpaqueTypeILi1EEEEEPlSC_PSA_SD_jNS1_19radix_merge_compareILb1ELb1ElNS0_19identity_decomposerEEEEEvT0_T1_T2_T3_T4_SL_T5_
    .private_segment_fixed_size: 0
    .sgpr_count:     28
    .sgpr_spill_count: 0
    .symbol:         _ZN7rocprim17ROCPRIM_304000_NS6detail33device_block_merge_oddeven_kernelINS1_37wrapped_merge_sort_block_merge_configINS0_14default_configElN2at4cuda3cub6detail10OpaqueTypeILi1EEEEEPlSC_PSA_SD_jNS1_19radix_merge_compareILb1ELb1ElNS0_19identity_decomposerEEEEEvT0_T1_T2_T3_T4_SL_T5_.kd
    .uniform_work_group_size: 1
    .uses_dynamic_stack: false
    .vgpr_count:     15
    .vgpr_spill_count: 0
    .wavefront_size: 64
  - .agpr_count:     0
    .args:
      - .address_space:  global
        .offset:         0
        .size:           8
        .value_kind:     global_buffer
      - .address_space:  global
        .offset:         8
        .size:           8
        .value_kind:     global_buffer
      - .offset:         16
        .size:           8
        .value_kind:     by_value
      - .offset:         24
        .size:           8
        .value_kind:     by_value
      - .offset:         32
        .size:           1
        .value_kind:     by_value
      - .offset:         36
        .size:           4
        .value_kind:     by_value
      - .offset:         40
        .size:           4
        .value_kind:     by_value
    .group_segment_fixed_size: 32768
    .kernarg_segment_align: 8
    .kernarg_segment_size: 44
    .language:       OpenCL C
    .language_version:
      - 2
      - 0
    .max_flat_workgroup_size: 256
    .name:           _ZN7rocprim17ROCPRIM_304000_NS6detail26onesweep_histograms_kernelINS1_34wrapped_radix_sort_onesweep_configINS0_14default_configElN2at4cuda3cub6detail10OpaqueTypeILi1EEEEELb1EPKlmNS0_19identity_decomposerEEEvT1_PT2_SG_SG_T3_jj
    .private_segment_fixed_size: 0
    .sgpr_count:     43
    .sgpr_spill_count: 0
    .symbol:         _ZN7rocprim17ROCPRIM_304000_NS6detail26onesweep_histograms_kernelINS1_34wrapped_radix_sort_onesweep_configINS0_14default_configElN2at4cuda3cub6detail10OpaqueTypeILi1EEEEELb1EPKlmNS0_19identity_decomposerEEEvT1_PT2_SG_SG_T3_jj.kd
    .uniform_work_group_size: 1
    .uses_dynamic_stack: false
    .vgpr_count:     37
    .vgpr_spill_count: 0
    .wavefront_size: 64
  - .agpr_count:     0
    .args:
      - .address_space:  global
        .offset:         0
        .size:           8
        .value_kind:     global_buffer
    .group_segment_fixed_size: 32
    .kernarg_segment_align: 8
    .kernarg_segment_size: 8
    .language:       OpenCL C
    .language_version:
      - 2
      - 0
    .max_flat_workgroup_size: 256
    .name:           _ZN7rocprim17ROCPRIM_304000_NS6detail31onesweep_scan_histograms_kernelINS1_34wrapped_radix_sort_onesweep_configINS0_14default_configElN2at4cuda3cub6detail10OpaqueTypeILi1EEEEEmEEvPT0_
    .private_segment_fixed_size: 0
    .sgpr_count:     14
    .sgpr_spill_count: 0
    .symbol:         _ZN7rocprim17ROCPRIM_304000_NS6detail31onesweep_scan_histograms_kernelINS1_34wrapped_radix_sort_onesweep_configINS0_14default_configElN2at4cuda3cub6detail10OpaqueTypeILi1EEEEEmEEvPT0_.kd
    .uniform_work_group_size: 1
    .uses_dynamic_stack: false
    .vgpr_count:     13
    .vgpr_spill_count: 0
    .wavefront_size: 64
  - .agpr_count:     0
    .args:
      - .address_space:  global
        .offset:         0
        .size:           8
        .value_kind:     global_buffer
      - .offset:         8
        .size:           8
        .value_kind:     by_value
      - .address_space:  global
        .offset:         16
        .size:           8
        .value_kind:     global_buffer
      - .offset:         24
        .size:           1
        .value_kind:     by_value
      - .offset:         32
        .size:           4
        .value_kind:     hidden_block_count_x
      - .offset:         36
        .size:           4
        .value_kind:     hidden_block_count_y
      - .offset:         40
        .size:           4
        .value_kind:     hidden_block_count_z
      - .offset:         44
        .size:           2
        .value_kind:     hidden_group_size_x
      - .offset:         46
        .size:           2
        .value_kind:     hidden_group_size_y
      - .offset:         48
        .size:           2
        .value_kind:     hidden_group_size_z
      - .offset:         50
        .size:           2
        .value_kind:     hidden_remainder_x
      - .offset:         52
        .size:           2
        .value_kind:     hidden_remainder_y
      - .offset:         54
        .size:           2
        .value_kind:     hidden_remainder_z
      - .offset:         72
        .size:           8
        .value_kind:     hidden_global_offset_x
      - .offset:         80
        .size:           8
        .value_kind:     hidden_global_offset_y
      - .offset:         88
        .size:           8
        .value_kind:     hidden_global_offset_z
      - .offset:         96
        .size:           2
        .value_kind:     hidden_grid_dims
    .group_segment_fixed_size: 0
    .kernarg_segment_align: 8
    .kernarg_segment_size: 288
    .language:       OpenCL C
    .language_version:
      - 2
      - 0
    .max_flat_workgroup_size: 256
    .name:           _ZN7rocprim17ROCPRIM_304000_NS6detail16transform_kernelINS1_24wrapped_transform_configINS0_14default_configElEElPKlPlNS0_8identityIlEEEEvT1_mT2_T3_
    .private_segment_fixed_size: 0
    .sgpr_count:     16
    .sgpr_spill_count: 0
    .symbol:         _ZN7rocprim17ROCPRIM_304000_NS6detail16transform_kernelINS1_24wrapped_transform_configINS0_14default_configElEElPKlPlNS0_8identityIlEEEEvT1_mT2_T3_.kd
    .uniform_work_group_size: 1
    .uses_dynamic_stack: false
    .vgpr_count:     8
    .vgpr_spill_count: 0
    .wavefront_size: 64
  - .agpr_count:     0
    .args:
      - .address_space:  global
        .offset:         0
        .size:           8
        .value_kind:     global_buffer
      - .offset:         8
        .size:           8
        .value_kind:     by_value
      - .address_space:  global
        .offset:         16
        .size:           8
        .value_kind:     global_buffer
      - .offset:         24
        .size:           1
        .value_kind:     by_value
      - .offset:         32
        .size:           4
        .value_kind:     hidden_block_count_x
      - .offset:         36
        .size:           4
        .value_kind:     hidden_block_count_y
      - .offset:         40
        .size:           4
        .value_kind:     hidden_block_count_z
      - .offset:         44
        .size:           2
        .value_kind:     hidden_group_size_x
      - .offset:         46
        .size:           2
        .value_kind:     hidden_group_size_y
      - .offset:         48
        .size:           2
        .value_kind:     hidden_group_size_z
      - .offset:         50
        .size:           2
        .value_kind:     hidden_remainder_x
      - .offset:         52
        .size:           2
        .value_kind:     hidden_remainder_y
      - .offset:         54
        .size:           2
        .value_kind:     hidden_remainder_z
      - .offset:         72
        .size:           8
        .value_kind:     hidden_global_offset_x
      - .offset:         80
        .size:           8
        .value_kind:     hidden_global_offset_y
      - .offset:         88
        .size:           8
        .value_kind:     hidden_global_offset_z
      - .offset:         96
        .size:           2
        .value_kind:     hidden_grid_dims
    .group_segment_fixed_size: 0
    .kernarg_segment_align: 8
    .kernarg_segment_size: 288
    .language:       OpenCL C
    .language_version:
      - 2
      - 0
    .max_flat_workgroup_size: 64
    .name:           _ZN7rocprim17ROCPRIM_304000_NS6detail16transform_kernelINS1_24wrapped_transform_configINS0_14default_configEN2at4cuda3cub6detail10OpaqueTypeILi1EEEEESA_PKSA_PSA_NS0_8identityISA_EEEEvT1_mT2_T3_
    .private_segment_fixed_size: 0
    .sgpr_count:     40
    .sgpr_spill_count: 0
    .symbol:         _ZN7rocprim17ROCPRIM_304000_NS6detail16transform_kernelINS1_24wrapped_transform_configINS0_14default_configEN2at4cuda3cub6detail10OpaqueTypeILi1EEEEESA_PKSA_PSA_NS0_8identityISA_EEEEvT1_mT2_T3_.kd
    .uniform_work_group_size: 1
    .uses_dynamic_stack: false
    .vgpr_count:     21
    .vgpr_spill_count: 0
    .wavefront_size: 64
  - .agpr_count:     0
    .args:
      - .address_space:  global
        .offset:         0
        .size:           8
        .value_kind:     global_buffer
      - .address_space:  global
        .offset:         8
        .size:           8
        .value_kind:     global_buffer
      - .address_space:  global
        .offset:         16
        .size:           8
        .value_kind:     global_buffer
      - .address_space:  global
        .offset:         24
        .size:           8
        .value_kind:     global_buffer
      - .offset:         32
        .size:           4
        .value_kind:     by_value
      - .address_space:  global
        .offset:         40
        .size:           8
        .value_kind:     global_buffer
      - .address_space:  global
        .offset:         48
        .size:           8
        .value_kind:     global_buffer
      - .address_space:  global
        .offset:         56
        .size:           8
        .value_kind:     global_buffer
      - .offset:         64
        .size:           1
        .value_kind:     by_value
      - .offset:         68
        .size:           4
        .value_kind:     by_value
      - .offset:         72
        .size:           4
        .value_kind:     by_value
      - .offset:         76
        .size:           4
        .value_kind:     by_value
      - .offset:         80
        .size:           4
        .value_kind:     hidden_block_count_x
      - .offset:         84
        .size:           4
        .value_kind:     hidden_block_count_y
      - .offset:         88
        .size:           4
        .value_kind:     hidden_block_count_z
      - .offset:         92
        .size:           2
        .value_kind:     hidden_group_size_x
      - .offset:         94
        .size:           2
        .value_kind:     hidden_group_size_y
      - .offset:         96
        .size:           2
        .value_kind:     hidden_group_size_z
      - .offset:         98
        .size:           2
        .value_kind:     hidden_remainder_x
      - .offset:         100
        .size:           2
        .value_kind:     hidden_remainder_y
      - .offset:         102
        .size:           2
        .value_kind:     hidden_remainder_z
      - .offset:         120
        .size:           8
        .value_kind:     hidden_global_offset_x
      - .offset:         128
        .size:           8
        .value_kind:     hidden_global_offset_y
      - .offset:         136
        .size:           8
        .value_kind:     hidden_global_offset_z
      - .offset:         144
        .size:           2
        .value_kind:     hidden_grid_dims
    .group_segment_fixed_size: 26624
    .kernarg_segment_align: 8
    .kernarg_segment_size: 336
    .language:       OpenCL C
    .language_version:
      - 2
      - 0
    .max_flat_workgroup_size: 256
    .name:           _ZN7rocprim17ROCPRIM_304000_NS6detail25onesweep_iteration_kernelINS1_34wrapped_radix_sort_onesweep_configINS0_14default_configElN2at4cuda3cub6detail10OpaqueTypeILi1EEEEELb1EPKlPlPKSA_PSA_mNS0_19identity_decomposerEEEvT1_T2_T3_T4_jPT5_SO_PNS1_23onesweep_lookback_stateET6_jjj
    .private_segment_fixed_size: 0
    .sgpr_count:     78
    .sgpr_spill_count: 0
    .symbol:         _ZN7rocprim17ROCPRIM_304000_NS6detail25onesweep_iteration_kernelINS1_34wrapped_radix_sort_onesweep_configINS0_14default_configElN2at4cuda3cub6detail10OpaqueTypeILi1EEEEELb1EPKlPlPKSA_PSA_mNS0_19identity_decomposerEEEvT1_T2_T3_T4_jPT5_SO_PNS1_23onesweep_lookback_stateET6_jjj.kd
    .uniform_work_group_size: 1
    .uses_dynamic_stack: false
    .vgpr_count:     76
    .vgpr_spill_count: 0
    .wavefront_size: 64
  - .agpr_count:     0
    .args:
      - .address_space:  global
        .offset:         0
        .size:           8
        .value_kind:     global_buffer
      - .address_space:  global
        .offset:         8
        .size:           8
        .value_kind:     global_buffer
      - .address_space:  global
        .offset:         16
        .size:           8
        .value_kind:     global_buffer
      - .address_space:  global
        .offset:         24
        .size:           8
        .value_kind:     global_buffer
      - .offset:         32
        .size:           4
        .value_kind:     by_value
      - .address_space:  global
        .offset:         40
        .size:           8
        .value_kind:     global_buffer
      - .address_space:  global
        .offset:         48
        .size:           8
        .value_kind:     global_buffer
      - .address_space:  global
        .offset:         56
        .size:           8
        .value_kind:     global_buffer
      - .offset:         64
        .size:           1
        .value_kind:     by_value
      - .offset:         68
        .size:           4
        .value_kind:     by_value
      - .offset:         72
        .size:           4
        .value_kind:     by_value
      - .offset:         76
        .size:           4
        .value_kind:     by_value
      - .offset:         80
        .size:           4
        .value_kind:     hidden_block_count_x
      - .offset:         84
        .size:           4
        .value_kind:     hidden_block_count_y
      - .offset:         88
        .size:           4
        .value_kind:     hidden_block_count_z
      - .offset:         92
        .size:           2
        .value_kind:     hidden_group_size_x
      - .offset:         94
        .size:           2
        .value_kind:     hidden_group_size_y
      - .offset:         96
        .size:           2
        .value_kind:     hidden_group_size_z
      - .offset:         98
        .size:           2
        .value_kind:     hidden_remainder_x
      - .offset:         100
        .size:           2
        .value_kind:     hidden_remainder_y
      - .offset:         102
        .size:           2
        .value_kind:     hidden_remainder_z
      - .offset:         120
        .size:           8
        .value_kind:     hidden_global_offset_x
      - .offset:         128
        .size:           8
        .value_kind:     hidden_global_offset_y
      - .offset:         136
        .size:           8
        .value_kind:     hidden_global_offset_z
      - .offset:         144
        .size:           2
        .value_kind:     hidden_grid_dims
    .group_segment_fixed_size: 26624
    .kernarg_segment_align: 8
    .kernarg_segment_size: 336
    .language:       OpenCL C
    .language_version:
      - 2
      - 0
    .max_flat_workgroup_size: 256
    .name:           _ZN7rocprim17ROCPRIM_304000_NS6detail25onesweep_iteration_kernelINS1_34wrapped_radix_sort_onesweep_configINS0_14default_configElN2at4cuda3cub6detail10OpaqueTypeILi1EEEEELb1EPlSC_PSA_SD_mNS0_19identity_decomposerEEEvT1_T2_T3_T4_jPT5_SK_PNS1_23onesweep_lookback_stateET6_jjj
    .private_segment_fixed_size: 0
    .sgpr_count:     78
    .sgpr_spill_count: 0
    .symbol:         _ZN7rocprim17ROCPRIM_304000_NS6detail25onesweep_iteration_kernelINS1_34wrapped_radix_sort_onesweep_configINS0_14default_configElN2at4cuda3cub6detail10OpaqueTypeILi1EEEEELb1EPlSC_PSA_SD_mNS0_19identity_decomposerEEEvT1_T2_T3_T4_jPT5_SK_PNS1_23onesweep_lookback_stateET6_jjj.kd
    .uniform_work_group_size: 1
    .uses_dynamic_stack: false
    .vgpr_count:     76
    .vgpr_spill_count: 0
    .wavefront_size: 64
  - .agpr_count:     0
    .args:
      - .address_space:  global
        .offset:         0
        .size:           8
        .value_kind:     global_buffer
      - .address_space:  global
        .offset:         8
        .size:           8
        .value_kind:     global_buffer
      - .address_space:  global
        .offset:         16
        .size:           8
        .value_kind:     global_buffer
      - .address_space:  global
        .offset:         24
        .size:           8
        .value_kind:     global_buffer
      - .offset:         32
        .size:           4
        .value_kind:     by_value
      - .offset:         36
        .size:           1
        .value_kind:     by_value
      - .offset:         40
        .size:           4
        .value_kind:     by_value
      - .offset:         44
        .size:           4
        .value_kind:     by_value
      - .offset:         48
        .size:           4
        .value_kind:     hidden_block_count_x
      - .offset:         52
        .size:           4
        .value_kind:     hidden_block_count_y
      - .offset:         56
        .size:           4
        .value_kind:     hidden_block_count_z
      - .offset:         60
        .size:           2
        .value_kind:     hidden_group_size_x
      - .offset:         62
        .size:           2
        .value_kind:     hidden_group_size_y
      - .offset:         64
        .size:           2
        .value_kind:     hidden_group_size_z
      - .offset:         66
        .size:           2
        .value_kind:     hidden_remainder_x
      - .offset:         68
        .size:           2
        .value_kind:     hidden_remainder_y
      - .offset:         70
        .size:           2
        .value_kind:     hidden_remainder_z
      - .offset:         88
        .size:           8
        .value_kind:     hidden_global_offset_x
      - .offset:         96
        .size:           8
        .value_kind:     hidden_global_offset_y
      - .offset:         104
        .size:           8
        .value_kind:     hidden_global_offset_z
      - .offset:         112
        .size:           2
        .value_kind:     hidden_grid_dims
    .group_segment_fixed_size: 8192
    .kernarg_segment_align: 8
    .kernarg_segment_size: 304
    .language:       OpenCL C
    .language_version:
      - 2
      - 0
    .max_flat_workgroup_size: 256
    .name:           _ZN7rocprim17ROCPRIM_304000_NS6detail28radix_sort_block_sort_kernelINS1_36wrapped_radix_sort_block_sort_configINS0_13kernel_configILj256ELj4ELj4294967295EEElN2at4cuda3cub6detail10OpaqueTypeILi1EEEEELb0EPKlPlPKSB_PSB_NS0_19identity_decomposerEEEvT1_T2_T3_T4_jT5_jj
    .private_segment_fixed_size: 0
    .sgpr_count:     50
    .sgpr_spill_count: 0
    .symbol:         _ZN7rocprim17ROCPRIM_304000_NS6detail28radix_sort_block_sort_kernelINS1_36wrapped_radix_sort_block_sort_configINS0_13kernel_configILj256ELj4ELj4294967295EEElN2at4cuda3cub6detail10OpaqueTypeILi1EEEEELb0EPKlPlPKSB_PSB_NS0_19identity_decomposerEEEvT1_T2_T3_T4_jT5_jj.kd
    .uniform_work_group_size: 1
    .uses_dynamic_stack: false
    .vgpr_count:     52
    .vgpr_spill_count: 0
    .wavefront_size: 64
  - .agpr_count:     0
    .args:
      - .address_space:  global
        .offset:         0
        .size:           8
        .value_kind:     global_buffer
      - .offset:         8
        .size:           4
        .value_kind:     by_value
      - .offset:         12
        .size:           4
        .value_kind:     by_value
      - .address_space:  global
        .offset:         16
        .size:           8
        .value_kind:     global_buffer
      - .offset:         24
        .size:           1
        .value_kind:     by_value
      - .offset:         28
        .size:           4
        .value_kind:     by_value
    .group_segment_fixed_size: 0
    .kernarg_segment_align: 8
    .kernarg_segment_size: 32
    .language:       OpenCL C
    .language_version:
      - 2
      - 0
    .max_flat_workgroup_size: 128
    .name:           _ZN7rocprim17ROCPRIM_304000_NS6detail45device_block_merge_mergepath_partition_kernelINS1_37wrapped_merge_sort_block_merge_configINS0_14default_configElN2at4cuda3cub6detail10OpaqueTypeILi1EEEEEPljNS1_19radix_merge_compareILb0ELb0ElNS0_19identity_decomposerEEEEEvT0_T1_jPSH_T2_SH_
    .private_segment_fixed_size: 0
    .sgpr_count:     11
    .sgpr_spill_count: 0
    .symbol:         _ZN7rocprim17ROCPRIM_304000_NS6detail45device_block_merge_mergepath_partition_kernelINS1_37wrapped_merge_sort_block_merge_configINS0_14default_configElN2at4cuda3cub6detail10OpaqueTypeILi1EEEEEPljNS1_19radix_merge_compareILb0ELb0ElNS0_19identity_decomposerEEEEEvT0_T1_jPSH_T2_SH_.kd
    .uniform_work_group_size: 1
    .uses_dynamic_stack: false
    .vgpr_count:     20
    .vgpr_spill_count: 0
    .wavefront_size: 64
  - .agpr_count:     0
    .args:
      - .address_space:  global
        .offset:         0
        .size:           8
        .value_kind:     global_buffer
      - .address_space:  global
        .offset:         8
        .size:           8
        .value_kind:     global_buffer
      - .address_space:  global
        .offset:         16
        .size:           8
        .value_kind:     global_buffer
      - .address_space:  global
        .offset:         24
        .size:           8
        .value_kind:     global_buffer
      - .offset:         32
        .size:           4
        .value_kind:     by_value
      - .offset:         36
        .size:           4
        .value_kind:     by_value
      - .offset:         40
        .size:           4
        .value_kind:     by_value
      - .offset:         44
        .size:           1
        .value_kind:     by_value
      - .address_space:  global
        .offset:         48
        .size:           8
        .value_kind:     global_buffer
      - .address_space:  global
        .offset:         56
        .size:           8
        .value_kind:     global_buffer
      - .offset:         64
        .size:           4
        .value_kind:     hidden_block_count_x
      - .offset:         68
        .size:           4
        .value_kind:     hidden_block_count_y
      - .offset:         72
        .size:           4
        .value_kind:     hidden_block_count_z
      - .offset:         76
        .size:           2
        .value_kind:     hidden_group_size_x
      - .offset:         78
        .size:           2
        .value_kind:     hidden_group_size_y
      - .offset:         80
        .size:           2
        .value_kind:     hidden_group_size_z
      - .offset:         82
        .size:           2
        .value_kind:     hidden_remainder_x
      - .offset:         84
        .size:           2
        .value_kind:     hidden_remainder_y
      - .offset:         86
        .size:           2
        .value_kind:     hidden_remainder_z
      - .offset:         104
        .size:           8
        .value_kind:     hidden_global_offset_x
      - .offset:         112
        .size:           8
        .value_kind:     hidden_global_offset_y
      - .offset:         120
        .size:           8
        .value_kind:     hidden_global_offset_z
      - .offset:         128
        .size:           2
        .value_kind:     hidden_grid_dims
    .group_segment_fixed_size: 8448
    .kernarg_segment_align: 8
    .kernarg_segment_size: 320
    .language:       OpenCL C
    .language_version:
      - 2
      - 0
    .max_flat_workgroup_size: 256
    .name:           _ZN7rocprim17ROCPRIM_304000_NS6detail35device_block_merge_mergepath_kernelINS1_37wrapped_merge_sort_block_merge_configINS0_14default_configElN2at4cuda3cub6detail10OpaqueTypeILi1EEEEEPlSC_PSA_SD_jNS1_19radix_merge_compareILb0ELb0ElNS0_19identity_decomposerEEEEEvT0_T1_T2_T3_T4_SL_jT5_PKSL_NS1_7vsmem_tE
    .private_segment_fixed_size: 0
    .sgpr_count:     35
    .sgpr_spill_count: 0
    .symbol:         _ZN7rocprim17ROCPRIM_304000_NS6detail35device_block_merge_mergepath_kernelINS1_37wrapped_merge_sort_block_merge_configINS0_14default_configElN2at4cuda3cub6detail10OpaqueTypeILi1EEEEEPlSC_PSA_SD_jNS1_19radix_merge_compareILb0ELb0ElNS0_19identity_decomposerEEEEEvT0_T1_T2_T3_T4_SL_jT5_PKSL_NS1_7vsmem_tE.kd
    .uniform_work_group_size: 1
    .uses_dynamic_stack: false
    .vgpr_count:     24
    .vgpr_spill_count: 0
    .wavefront_size: 64
  - .agpr_count:     0
    .args:
      - .address_space:  global
        .offset:         0
        .size:           8
        .value_kind:     global_buffer
      - .address_space:  global
        .offset:         8
        .size:           8
        .value_kind:     global_buffer
      - .address_space:  global
        .offset:         16
        .size:           8
        .value_kind:     global_buffer
      - .address_space:  global
        .offset:         24
        .size:           8
        .value_kind:     global_buffer
      - .offset:         32
        .size:           4
        .value_kind:     by_value
      - .offset:         36
        .size:           4
        .value_kind:     by_value
      - .offset:         40
        .size:           1
        .value_kind:     by_value
    .group_segment_fixed_size: 0
    .kernarg_segment_align: 8
    .kernarg_segment_size: 44
    .language:       OpenCL C
    .language_version:
      - 2
      - 0
    .max_flat_workgroup_size: 256
    .name:           _ZN7rocprim17ROCPRIM_304000_NS6detail33device_block_merge_oddeven_kernelINS1_37wrapped_merge_sort_block_merge_configINS0_14default_configElN2at4cuda3cub6detail10OpaqueTypeILi1EEEEEPlSC_PSA_SD_jNS1_19radix_merge_compareILb0ELb0ElNS0_19identity_decomposerEEEEEvT0_T1_T2_T3_T4_SL_T5_
    .private_segment_fixed_size: 0
    .sgpr_count:     27
    .sgpr_spill_count: 0
    .symbol:         _ZN7rocprim17ROCPRIM_304000_NS6detail33device_block_merge_oddeven_kernelINS1_37wrapped_merge_sort_block_merge_configINS0_14default_configElN2at4cuda3cub6detail10OpaqueTypeILi1EEEEEPlSC_PSA_SD_jNS1_19radix_merge_compareILb0ELb0ElNS0_19identity_decomposerEEEEEvT0_T1_T2_T3_T4_SL_T5_.kd
    .uniform_work_group_size: 1
    .uses_dynamic_stack: false
    .vgpr_count:     13
    .vgpr_spill_count: 0
    .wavefront_size: 64
  - .agpr_count:     0
    .args:
      - .address_space:  global
        .offset:         0
        .size:           8
        .value_kind:     global_buffer
      - .offset:         8
        .size:           4
        .value_kind:     by_value
      - .offset:         12
        .size:           4
        .value_kind:     by_value
      - .address_space:  global
        .offset:         16
        .size:           8
        .value_kind:     global_buffer
      - .offset:         24
        .size:           8
        .value_kind:     by_value
      - .offset:         32
        .size:           4
        .value_kind:     by_value
    .group_segment_fixed_size: 0
    .kernarg_segment_align: 8
    .kernarg_segment_size: 36
    .language:       OpenCL C
    .language_version:
      - 2
      - 0
    .max_flat_workgroup_size: 128
    .name:           _ZN7rocprim17ROCPRIM_304000_NS6detail45device_block_merge_mergepath_partition_kernelINS1_37wrapped_merge_sort_block_merge_configINS0_14default_configElN2at4cuda3cub6detail10OpaqueTypeILi1EEEEEPljNS1_19radix_merge_compareILb0ELb1ElNS0_19identity_decomposerEEEEEvT0_T1_jPSH_T2_SH_
    .private_segment_fixed_size: 0
    .sgpr_count:     14
    .sgpr_spill_count: 0
    .symbol:         _ZN7rocprim17ROCPRIM_304000_NS6detail45device_block_merge_mergepath_partition_kernelINS1_37wrapped_merge_sort_block_merge_configINS0_14default_configElN2at4cuda3cub6detail10OpaqueTypeILi1EEEEEPljNS1_19radix_merge_compareILb0ELb1ElNS0_19identity_decomposerEEEEEvT0_T1_jPSH_T2_SH_.kd
    .uniform_work_group_size: 1
    .uses_dynamic_stack: false
    .vgpr_count:     16
    .vgpr_spill_count: 0
    .wavefront_size: 64
  - .agpr_count:     0
    .args:
      - .address_space:  global
        .offset:         0
        .size:           8
        .value_kind:     global_buffer
      - .address_space:  global
        .offset:         8
        .size:           8
        .value_kind:     global_buffer
      - .address_space:  global
        .offset:         16
        .size:           8
        .value_kind:     global_buffer
      - .address_space:  global
        .offset:         24
        .size:           8
        .value_kind:     global_buffer
      - .offset:         32
        .size:           4
        .value_kind:     by_value
      - .offset:         36
        .size:           4
        .value_kind:     by_value
      - .offset:         40
        .size:           4
        .value_kind:     by_value
      - .offset:         48
        .size:           8
        .value_kind:     by_value
      - .address_space:  global
        .offset:         56
        .size:           8
        .value_kind:     global_buffer
      - .address_space:  global
        .offset:         64
        .size:           8
        .value_kind:     global_buffer
      - .offset:         72
        .size:           4
        .value_kind:     hidden_block_count_x
      - .offset:         76
        .size:           4
        .value_kind:     hidden_block_count_y
      - .offset:         80
        .size:           4
        .value_kind:     hidden_block_count_z
      - .offset:         84
        .size:           2
        .value_kind:     hidden_group_size_x
      - .offset:         86
        .size:           2
        .value_kind:     hidden_group_size_y
      - .offset:         88
        .size:           2
        .value_kind:     hidden_group_size_z
      - .offset:         90
        .size:           2
        .value_kind:     hidden_remainder_x
      - .offset:         92
        .size:           2
        .value_kind:     hidden_remainder_y
      - .offset:         94
        .size:           2
        .value_kind:     hidden_remainder_z
      - .offset:         112
        .size:           8
        .value_kind:     hidden_global_offset_x
      - .offset:         120
        .size:           8
        .value_kind:     hidden_global_offset_y
      - .offset:         128
        .size:           8
        .value_kind:     hidden_global_offset_z
      - .offset:         136
        .size:           2
        .value_kind:     hidden_grid_dims
    .group_segment_fixed_size: 8448
    .kernarg_segment_align: 8
    .kernarg_segment_size: 328
    .language:       OpenCL C
    .language_version:
      - 2
      - 0
    .max_flat_workgroup_size: 256
    .name:           _ZN7rocprim17ROCPRIM_304000_NS6detail35device_block_merge_mergepath_kernelINS1_37wrapped_merge_sort_block_merge_configINS0_14default_configElN2at4cuda3cub6detail10OpaqueTypeILi1EEEEEPlSC_PSA_SD_jNS1_19radix_merge_compareILb0ELb1ElNS0_19identity_decomposerEEEEEvT0_T1_T2_T3_T4_SL_jT5_PKSL_NS1_7vsmem_tE
    .private_segment_fixed_size: 0
    .sgpr_count:     36
    .sgpr_spill_count: 0
    .symbol:         _ZN7rocprim17ROCPRIM_304000_NS6detail35device_block_merge_mergepath_kernelINS1_37wrapped_merge_sort_block_merge_configINS0_14default_configElN2at4cuda3cub6detail10OpaqueTypeILi1EEEEEPlSC_PSA_SD_jNS1_19radix_merge_compareILb0ELb1ElNS0_19identity_decomposerEEEEEvT0_T1_T2_T3_T4_SL_jT5_PKSL_NS1_7vsmem_tE.kd
    .uniform_work_group_size: 1
    .uses_dynamic_stack: false
    .vgpr_count:     26
    .vgpr_spill_count: 0
    .wavefront_size: 64
  - .agpr_count:     0
    .args:
      - .address_space:  global
        .offset:         0
        .size:           8
        .value_kind:     global_buffer
      - .address_space:  global
        .offset:         8
        .size:           8
        .value_kind:     global_buffer
      - .address_space:  global
        .offset:         16
        .size:           8
        .value_kind:     global_buffer
      - .address_space:  global
        .offset:         24
        .size:           8
        .value_kind:     global_buffer
      - .offset:         32
        .size:           4
        .value_kind:     by_value
      - .offset:         36
        .size:           4
        .value_kind:     by_value
      - .offset:         40
        .size:           8
        .value_kind:     by_value
    .group_segment_fixed_size: 0
    .kernarg_segment_align: 8
    .kernarg_segment_size: 48
    .language:       OpenCL C
    .language_version:
      - 2
      - 0
    .max_flat_workgroup_size: 256
    .name:           _ZN7rocprim17ROCPRIM_304000_NS6detail33device_block_merge_oddeven_kernelINS1_37wrapped_merge_sort_block_merge_configINS0_14default_configElN2at4cuda3cub6detail10OpaqueTypeILi1EEEEEPlSC_PSA_SD_jNS1_19radix_merge_compareILb0ELb1ElNS0_19identity_decomposerEEEEEvT0_T1_T2_T3_T4_SL_T5_
    .private_segment_fixed_size: 0
    .sgpr_count:     28
    .sgpr_spill_count: 0
    .symbol:         _ZN7rocprim17ROCPRIM_304000_NS6detail33device_block_merge_oddeven_kernelINS1_37wrapped_merge_sort_block_merge_configINS0_14default_configElN2at4cuda3cub6detail10OpaqueTypeILi1EEEEEPlSC_PSA_SD_jNS1_19radix_merge_compareILb0ELb1ElNS0_19identity_decomposerEEEEEvT0_T1_T2_T3_T4_SL_T5_.kd
    .uniform_work_group_size: 1
    .uses_dynamic_stack: false
    .vgpr_count:     15
    .vgpr_spill_count: 0
    .wavefront_size: 64
  - .agpr_count:     0
    .args:
      - .address_space:  global
        .offset:         0
        .size:           8
        .value_kind:     global_buffer
      - .address_space:  global
        .offset:         8
        .size:           8
        .value_kind:     global_buffer
      - .offset:         16
        .size:           8
        .value_kind:     by_value
      - .offset:         24
        .size:           8
        .value_kind:     by_value
      - .offset:         32
        .size:           1
        .value_kind:     by_value
      - .offset:         36
        .size:           4
        .value_kind:     by_value
      - .offset:         40
        .size:           4
        .value_kind:     by_value
    .group_segment_fixed_size: 32768
    .kernarg_segment_align: 8
    .kernarg_segment_size: 44
    .language:       OpenCL C
    .language_version:
      - 2
      - 0
    .max_flat_workgroup_size: 256
    .name:           _ZN7rocprim17ROCPRIM_304000_NS6detail26onesweep_histograms_kernelINS1_34wrapped_radix_sort_onesweep_configINS0_14default_configElN2at4cuda3cub6detail10OpaqueTypeILi1EEEEELb0EPKlmNS0_19identity_decomposerEEEvT1_PT2_SG_SG_T3_jj
    .private_segment_fixed_size: 0
    .sgpr_count:     43
    .sgpr_spill_count: 0
    .symbol:         _ZN7rocprim17ROCPRIM_304000_NS6detail26onesweep_histograms_kernelINS1_34wrapped_radix_sort_onesweep_configINS0_14default_configElN2at4cuda3cub6detail10OpaqueTypeILi1EEEEELb0EPKlmNS0_19identity_decomposerEEEvT1_PT2_SG_SG_T3_jj.kd
    .uniform_work_group_size: 1
    .uses_dynamic_stack: false
    .vgpr_count:     37
    .vgpr_spill_count: 0
    .wavefront_size: 64
  - .agpr_count:     0
    .args:
      - .address_space:  global
        .offset:         0
        .size:           8
        .value_kind:     global_buffer
      - .address_space:  global
        .offset:         8
        .size:           8
        .value_kind:     global_buffer
      - .address_space:  global
        .offset:         16
        .size:           8
        .value_kind:     global_buffer
      - .address_space:  global
        .offset:         24
        .size:           8
        .value_kind:     global_buffer
      - .offset:         32
        .size:           4
        .value_kind:     by_value
      - .address_space:  global
        .offset:         40
        .size:           8
        .value_kind:     global_buffer
      - .address_space:  global
        .offset:         48
        .size:           8
        .value_kind:     global_buffer
      - .address_space:  global
        .offset:         56
        .size:           8
        .value_kind:     global_buffer
      - .offset:         64
        .size:           1
        .value_kind:     by_value
      - .offset:         68
        .size:           4
        .value_kind:     by_value
      - .offset:         72
        .size:           4
        .value_kind:     by_value
      - .offset:         76
        .size:           4
        .value_kind:     by_value
      - .offset:         80
        .size:           4
        .value_kind:     hidden_block_count_x
      - .offset:         84
        .size:           4
        .value_kind:     hidden_block_count_y
      - .offset:         88
        .size:           4
        .value_kind:     hidden_block_count_z
      - .offset:         92
        .size:           2
        .value_kind:     hidden_group_size_x
      - .offset:         94
        .size:           2
        .value_kind:     hidden_group_size_y
      - .offset:         96
        .size:           2
        .value_kind:     hidden_group_size_z
      - .offset:         98
        .size:           2
        .value_kind:     hidden_remainder_x
      - .offset:         100
        .size:           2
        .value_kind:     hidden_remainder_y
      - .offset:         102
        .size:           2
        .value_kind:     hidden_remainder_z
      - .offset:         120
        .size:           8
        .value_kind:     hidden_global_offset_x
      - .offset:         128
        .size:           8
        .value_kind:     hidden_global_offset_y
      - .offset:         136
        .size:           8
        .value_kind:     hidden_global_offset_z
      - .offset:         144
        .size:           2
        .value_kind:     hidden_grid_dims
    .group_segment_fixed_size: 26624
    .kernarg_segment_align: 8
    .kernarg_segment_size: 336
    .language:       OpenCL C
    .language_version:
      - 2
      - 0
    .max_flat_workgroup_size: 256
    .name:           _ZN7rocprim17ROCPRIM_304000_NS6detail25onesweep_iteration_kernelINS1_34wrapped_radix_sort_onesweep_configINS0_14default_configElN2at4cuda3cub6detail10OpaqueTypeILi1EEEEELb0EPKlPlPKSA_PSA_mNS0_19identity_decomposerEEEvT1_T2_T3_T4_jPT5_SO_PNS1_23onesweep_lookback_stateET6_jjj
    .private_segment_fixed_size: 0
    .sgpr_count:     78
    .sgpr_spill_count: 0
    .symbol:         _ZN7rocprim17ROCPRIM_304000_NS6detail25onesweep_iteration_kernelINS1_34wrapped_radix_sort_onesweep_configINS0_14default_configElN2at4cuda3cub6detail10OpaqueTypeILi1EEEEELb0EPKlPlPKSA_PSA_mNS0_19identity_decomposerEEEvT1_T2_T3_T4_jPT5_SO_PNS1_23onesweep_lookback_stateET6_jjj.kd
    .uniform_work_group_size: 1
    .uses_dynamic_stack: false
    .vgpr_count:     76
    .vgpr_spill_count: 0
    .wavefront_size: 64
  - .agpr_count:     0
    .args:
      - .address_space:  global
        .offset:         0
        .size:           8
        .value_kind:     global_buffer
      - .address_space:  global
        .offset:         8
        .size:           8
        .value_kind:     global_buffer
      - .address_space:  global
        .offset:         16
        .size:           8
        .value_kind:     global_buffer
      - .address_space:  global
        .offset:         24
        .size:           8
        .value_kind:     global_buffer
      - .offset:         32
        .size:           4
        .value_kind:     by_value
      - .address_space:  global
        .offset:         40
        .size:           8
        .value_kind:     global_buffer
      - .address_space:  global
        .offset:         48
        .size:           8
        .value_kind:     global_buffer
      - .address_space:  global
        .offset:         56
        .size:           8
        .value_kind:     global_buffer
      - .offset:         64
        .size:           1
        .value_kind:     by_value
      - .offset:         68
        .size:           4
        .value_kind:     by_value
      - .offset:         72
        .size:           4
        .value_kind:     by_value
      - .offset:         76
        .size:           4
        .value_kind:     by_value
      - .offset:         80
        .size:           4
        .value_kind:     hidden_block_count_x
      - .offset:         84
        .size:           4
        .value_kind:     hidden_block_count_y
      - .offset:         88
        .size:           4
        .value_kind:     hidden_block_count_z
      - .offset:         92
        .size:           2
        .value_kind:     hidden_group_size_x
      - .offset:         94
        .size:           2
        .value_kind:     hidden_group_size_y
      - .offset:         96
        .size:           2
        .value_kind:     hidden_group_size_z
      - .offset:         98
        .size:           2
        .value_kind:     hidden_remainder_x
      - .offset:         100
        .size:           2
        .value_kind:     hidden_remainder_y
      - .offset:         102
        .size:           2
        .value_kind:     hidden_remainder_z
      - .offset:         120
        .size:           8
        .value_kind:     hidden_global_offset_x
      - .offset:         128
        .size:           8
        .value_kind:     hidden_global_offset_y
      - .offset:         136
        .size:           8
        .value_kind:     hidden_global_offset_z
      - .offset:         144
        .size:           2
        .value_kind:     hidden_grid_dims
    .group_segment_fixed_size: 26624
    .kernarg_segment_align: 8
    .kernarg_segment_size: 336
    .language:       OpenCL C
    .language_version:
      - 2
      - 0
    .max_flat_workgroup_size: 256
    .name:           _ZN7rocprim17ROCPRIM_304000_NS6detail25onesweep_iteration_kernelINS1_34wrapped_radix_sort_onesweep_configINS0_14default_configElN2at4cuda3cub6detail10OpaqueTypeILi1EEEEELb0EPlSC_PSA_SD_mNS0_19identity_decomposerEEEvT1_T2_T3_T4_jPT5_SK_PNS1_23onesweep_lookback_stateET6_jjj
    .private_segment_fixed_size: 0
    .sgpr_count:     78
    .sgpr_spill_count: 0
    .symbol:         _ZN7rocprim17ROCPRIM_304000_NS6detail25onesweep_iteration_kernelINS1_34wrapped_radix_sort_onesweep_configINS0_14default_configElN2at4cuda3cub6detail10OpaqueTypeILi1EEEEELb0EPlSC_PSA_SD_mNS0_19identity_decomposerEEEvT1_T2_T3_T4_jPT5_SK_PNS1_23onesweep_lookback_stateET6_jjj.kd
    .uniform_work_group_size: 1
    .uses_dynamic_stack: false
    .vgpr_count:     76
    .vgpr_spill_count: 0
    .wavefront_size: 64
amdhsa.target:   amdgcn-amd-amdhsa--gfx90a
amdhsa.version:
  - 1
  - 2
...

	.end_amdgpu_metadata
